;; amdgpu-corpus repo=ROCm/rocFFT kind=compiled arch=gfx1100 opt=O3
	.text
	.amdgcn_target "amdgcn-amd-amdhsa--gfx1100"
	.amdhsa_code_object_version 6
	.protected	bluestein_single_fwd_len1666_dim1_sp_op_CI_CI ; -- Begin function bluestein_single_fwd_len1666_dim1_sp_op_CI_CI
	.globl	bluestein_single_fwd_len1666_dim1_sp_op_CI_CI
	.p2align	8
	.type	bluestein_single_fwd_len1666_dim1_sp_op_CI_CI,@function
bluestein_single_fwd_len1666_dim1_sp_op_CI_CI: ; @bluestein_single_fwd_len1666_dim1_sp_op_CI_CI
; %bb.0:
	s_load_b128 s[4:7], s[0:1], 0x28
	v_mul_u32_u24_e32 v1, 0x227, v0
	s_mov_b32 s2, exec_lo
	v_mov_b32_e32 v81, 0
	s_delay_alu instid0(VALU_DEP_2) | instskip(NEXT) | instid1(VALU_DEP_1)
	v_lshrrev_b32_e32 v1, 16, v1
	v_add_nc_u32_e32 v80, s15, v1
	s_waitcnt lgkmcnt(0)
	s_delay_alu instid0(VALU_DEP_1)
	v_cmpx_gt_u64_e64 s[4:5], v[80:81]
	s_cbranch_execz .LBB0_15
; %bb.1:
	s_clause 0x1
	s_load_b64 s[12:13], s[0:1], 0x0
	s_load_b64 s[14:15], s[0:1], 0x38
	v_mul_lo_u16 v1, 0x77, v1
	s_delay_alu instid0(VALU_DEP_1) | instskip(NEXT) | instid1(VALU_DEP_1)
	v_sub_nc_u16 v0, v0, v1
	v_and_b32_e32 v116, 0xffff, v0
	v_cmp_gt_u16_e32 vcc_lo, 0x62, v0
	s_delay_alu instid0(VALU_DEP_2)
	v_lshlrev_b32_e32 v115, 3, v116
	s_and_saveexec_b32 s3, vcc_lo
	s_cbranch_execz .LBB0_3
; %bb.2:
	s_load_b64 s[4:5], s[0:1], 0x18
	s_waitcnt lgkmcnt(0)
	v_add_co_u32 v22, s2, s12, v115
	s_delay_alu instid0(VALU_DEP_1)
	v_add_co_ci_u32_e64 v23, null, s13, 0, s2
	v_add_nc_u32_e32 v72, 0x1000, v115
	s_load_b128 s[8:11], s[4:5], 0x0
	s_clause 0x2
	global_load_b64 v[4:5], v115, s[12:13]
	global_load_b64 v[6:7], v115, s[12:13] offset:784
	global_load_b64 v[8:9], v115, s[12:13] offset:1568
	s_waitcnt lgkmcnt(0)
	v_mad_u64_u32 v[0:1], null, s10, v80, 0
	v_mad_u64_u32 v[2:3], null, s8, v116, 0
	s_mul_i32 s4, s9, 0x310
	s_mul_hi_u32 s5, s8, 0x310
	s_delay_alu instid0(SALU_CYCLE_1) | instskip(NEXT) | instid1(VALU_DEP_1)
	s_add_i32 s5, s5, s4
	v_mad_u64_u32 v[10:11], null, s11, v80, v[1:2]
	s_clause 0x2
	global_load_b64 v[11:12], v115, s[12:13] offset:2352
	global_load_b64 v[13:14], v115, s[12:13] offset:3136
	;; [unrolled: 1-line block ×3, first 2 shown]
	v_dual_mov_b32 v1, v10 :: v_dual_add_nc_u32 v10, 0x400, v115
	s_delay_alu instid0(VALU_DEP_1) | instskip(SKIP_3) | instid1(VALU_DEP_1)
	v_lshlrev_b64 v[0:1], 3, v[0:1]
	s_waitcnt vmcnt(5)
	v_mad_u64_u32 v[17:18], null, s9, v116, v[3:4]
	v_add_co_u32 v18, s2, 0x1000, v22
	v_add_co_ci_u32_e64 v19, s2, 0, v23, s2
	v_add_co_u32 v20, s2, 0x2000, v22
	s_delay_alu instid0(VALU_DEP_4) | instskip(SKIP_2) | instid1(VALU_DEP_1)
	v_mov_b32_e32 v3, v17
	v_add_co_ci_u32_e64 v21, s2, 0, v23, s2
	v_add_co_u32 v22, s2, 0x3000, v22
	v_add_co_ci_u32_e64 v23, s2, 0, v23, s2
	s_delay_alu instid0(VALU_DEP_4) | instskip(SKIP_1) | instid1(VALU_DEP_1)
	v_lshlrev_b64 v[2:3], 3, v[2:3]
	v_add_co_u32 v0, s2, s6, v0
	v_add_co_ci_u32_e64 v1, s2, s7, v1, s2
	s_mul_i32 s6, s8, 0x310
	s_delay_alu instid0(VALU_DEP_2) | instskip(NEXT) | instid1(VALU_DEP_1)
	v_add_co_u32 v0, s2, v0, v2
	v_add_co_ci_u32_e64 v1, s2, v1, v3, s2
	s_clause 0x3
	global_load_b64 v[24:25], v[18:19], off offset:608
	global_load_b64 v[26:27], v[18:19], off offset:1392
	;; [unrolled: 1-line block ×4, first 2 shown]
	v_add_co_u32 v2, s2, v0, s6
	s_delay_alu instid0(VALU_DEP_1) | instskip(SKIP_2) | instid1(VALU_DEP_1)
	v_add_co_ci_u32_e64 v3, s2, s5, v1, s2
	global_load_b64 v[17:18], v[18:19], off offset:3744
	v_add_co_u32 v32, s2, v2, s6
	v_add_co_ci_u32_e64 v33, s2, s5, v3, s2
	s_clause 0x3
	global_load_b64 v[36:37], v[20:21], off offset:432
	global_load_b64 v[38:39], v[20:21], off offset:1216
	;; [unrolled: 1-line block ×4, first 2 shown]
	v_add_co_u32 v34, s2, v32, s6
	s_delay_alu instid0(VALU_DEP_1) | instskip(NEXT) | instid1(VALU_DEP_2)
	v_add_co_ci_u32_e64 v35, s2, s5, v33, s2
	v_add_co_u32 v44, s2, v34, s6
	s_delay_alu instid0(VALU_DEP_1)
	v_add_co_ci_u32_e64 v45, s2, s5, v35, s2
	s_clause 0x3
	global_load_b64 v[0:1], v[0:1], off
	global_load_b64 v[2:3], v[2:3], off
	global_load_b64 v[32:33], v[32:33], off
	global_load_b64 v[34:35], v[34:35], off
	v_add_co_u32 v46, s2, v44, s6
	s_delay_alu instid0(VALU_DEP_1) | instskip(SKIP_2) | instid1(VALU_DEP_1)
	v_add_co_ci_u32_e64 v47, s2, s5, v45, s2
	global_load_b64 v[44:45], v[44:45], off
	v_add_co_u32 v48, s2, v46, s6
	v_add_co_ci_u32_e64 v49, s2, s5, v47, s2
	global_load_b64 v[46:47], v[46:47], off
	v_add_co_u32 v50, s2, v48, s6
	s_delay_alu instid0(VALU_DEP_1) | instskip(SKIP_2) | instid1(VALU_DEP_1)
	v_add_co_ci_u32_e64 v51, s2, s5, v49, s2
	global_load_b64 v[48:49], v[48:49], off
	v_add_co_u32 v52, s2, v50, s6
	v_add_co_ci_u32_e64 v53, s2, s5, v51, s2
	global_load_b64 v[50:51], v[50:51], off
	v_add_co_u32 v54, s2, v52, s6
	s_delay_alu instid0(VALU_DEP_1) | instskip(SKIP_2) | instid1(VALU_DEP_1)
	v_add_co_ci_u32_e64 v55, s2, s5, v53, s2
	global_load_b64 v[52:53], v[52:53], off
	v_add_co_u32 v56, s2, v54, s6
	v_add_co_ci_u32_e64 v57, s2, s5, v55, s2
	global_load_b64 v[54:55], v[54:55], off
	v_add_co_u32 v58, s2, v56, s6
	s_delay_alu instid0(VALU_DEP_1) | instskip(SKIP_2) | instid1(VALU_DEP_1)
	v_add_co_ci_u32_e64 v59, s2, s5, v57, s2
	global_load_b64 v[56:57], v[56:57], off
	v_add_co_u32 v60, s2, v58, s6
	v_add_co_ci_u32_e64 v61, s2, s5, v59, s2
	global_load_b64 v[58:59], v[58:59], off
	v_add_co_u32 v62, s2, v60, s6
	s_delay_alu instid0(VALU_DEP_1) | instskip(SKIP_2) | instid1(VALU_DEP_1)
	v_add_co_ci_u32_e64 v63, s2, s5, v61, s2
	global_load_b64 v[60:61], v[60:61], off
	v_add_co_u32 v64, s2, v62, s6
	v_add_co_ci_u32_e64 v65, s2, s5, v63, s2
	global_load_b64 v[62:63], v[62:63], off
	v_add_co_u32 v66, s2, v64, s6
	s_delay_alu instid0(VALU_DEP_1) | instskip(SKIP_2) | instid1(VALU_DEP_1)
	v_add_co_ci_u32_e64 v67, s2, s5, v65, s2
	global_load_b64 v[64:65], v[64:65], off
	v_add_co_u32 v68, s2, v66, s6
	v_add_co_ci_u32_e64 v69, s2, s5, v67, s2
	global_load_b64 v[19:20], v[20:21], off offset:3568
	global_load_b64 v[66:67], v[66:67], off
	global_load_b64 v[21:22], v[22:23], off offset:256
	global_load_b64 v[68:69], v[68:69], off
	v_add_nc_u32_e32 v23, 0x800, v115
	v_add_nc_u32_e32 v74, 0x1c00, v115
	s_waitcnt vmcnt(18)
	v_dual_mul_f32 v70, v1, v5 :: v_dual_add_nc_u32 v75, 0x2000, v115
	v_mul_f32_e32 v71, v0, v5
	s_waitcnt vmcnt(17)
	v_mul_f32_e32 v5, v3, v7
	s_delay_alu instid0(VALU_DEP_3) | instskip(NEXT) | instid1(VALU_DEP_3)
	v_dual_fmac_f32 v70, v0, v4 :: v_dual_add_nc_u32 v73, 0x1800, v115
	v_fma_f32 v71, v1, v4, -v71
	s_waitcnt vmcnt(16)
	v_dual_mul_f32 v1, v2, v7 :: v_dual_mul_f32 v0, v33, v9
	v_mul_f32_e32 v4, v32, v9
	v_dual_fmac_f32 v5, v2, v6 :: v_dual_add_nc_u32 v76, 0x2800, v115
	s_waitcnt vmcnt(15)
	v_mul_f32_e32 v2, v35, v12
	v_mul_f32_e32 v7, v34, v12
	v_fma_f32 v6, v3, v6, -v1
	v_fmac_f32_e32 v0, v32, v8
	v_fma_f32 v1, v33, v8, -v4
	v_fmac_f32_e32 v2, v34, v11
	s_waitcnt vmcnt(14)
	v_mul_f32_e32 v4, v45, v14
	v_fma_f32 v3, v35, v11, -v7
	v_mul_f32_e32 v7, v44, v14
	ds_store_2addr_b64 v115, v[70:71], v[5:6] offset1:98
	s_waitcnt vmcnt(13)
	v_mul_f32_e32 v6, v47, v16
	v_fmac_f32_e32 v4, v44, v13
	ds_store_2addr_b64 v10, v[0:1], v[2:3] offset0:68 offset1:166
	v_mul_f32_e32 v1, v46, v16
	v_fma_f32 v5, v45, v13, -v7
	s_waitcnt vmcnt(12)
	v_mul_f32_e32 v0, v49, v25
	v_dual_mul_f32 v3, v48, v25 :: v_dual_fmac_f32 v6, v46, v15
	s_waitcnt vmcnt(10)
	v_dual_mul_f32 v9, v52, v29 :: v_dual_mul_f32 v2, v51, v27
	v_mul_f32_e32 v8, v50, v27
	v_fma_f32 v7, v47, v15, -v1
	v_fmac_f32_e32 v0, v48, v24
	v_fma_f32 v1, v49, v24, -v3
	v_fma_f32 v9, v53, v28, -v9
	;; [unrolled: 1-line block ×3, first 2 shown]
	ds_store_2addr_b64 v23, v[4:5], v[6:7] offset0:136 offset1:234
	v_mul_f32_e32 v8, v53, v29
	s_waitcnt vmcnt(7)
	v_dual_mul_f32 v4, v55, v31 :: v_dual_mul_f32 v7, v58, v37
	v_fmac_f32_e32 v2, v50, v26
	s_waitcnt vmcnt(5)
	v_dual_mul_f32 v6, v61, v39 :: v_dual_mul_f32 v11, v62, v41
	ds_store_2addr_b64 v72, v[0:1], v[2:3] offset0:76 offset1:174
	v_mul_f32_e32 v1, v54, v31
	v_mul_f32_e32 v3, v56, v18
	;; [unrolled: 1-line block ×5, first 2 shown]
	v_fma_f32 v5, v55, v30, -v1
	v_fma_f32 v1, v57, v17, -v3
	;; [unrolled: 1-line block ×3, first 2 shown]
	v_mul_f32_e32 v7, v60, v39
	s_waitcnt vmcnt(4)
	v_mul_f32_e32 v12, v65, v43
	s_waitcnt vmcnt(2)
	v_dual_mul_f32 v13, v64, v43 :: v_dual_mul_f32 v14, v67, v20
	v_dual_mul_f32 v15, v66, v20 :: v_dual_fmac_f32 v0, v56, v17
	s_waitcnt vmcnt(0)
	v_mul_f32_e32 v16, v69, v22
	v_mul_f32_e32 v17, v68, v22
	v_fmac_f32_e32 v8, v52, v28
	v_fmac_f32_e32 v4, v54, v30
	;; [unrolled: 1-line block ×4, first 2 shown]
	v_fma_f32 v7, v61, v38, -v7
	v_fmac_f32_e32 v10, v62, v40
	v_fma_f32 v11, v63, v40, -v11
	v_fmac_f32_e32 v12, v64, v42
	;; [unrolled: 2-line block ×4, first 2 shown]
	v_fma_f32 v17, v69, v21, -v17
	ds_store_2addr_b64 v73, v[8:9], v[4:5] offset0:16 offset1:114
	ds_store_2addr_b64 v74, v[0:1], v[2:3] offset0:84 offset1:182
	;; [unrolled: 1-line block ×4, first 2 shown]
	ds_store_b64 v115, v[16:17] offset:12544
.LBB0_3:
	s_or_b32 exec_lo, exec_lo, s3
	s_clause 0x1
	s_load_b64 s[2:3], s[0:1], 0x20
	s_load_b64 s[0:1], s[0:1], 0x8
	v_mov_b32_e32 v4, 0
	v_mov_b32_e32 v5, 0
	s_waitcnt lgkmcnt(0)
	s_barrier
	buffer_gl0_inv
                                        ; implicit-def: $vgpr14
                                        ; implicit-def: $vgpr8
                                        ; implicit-def: $vgpr36
                                        ; implicit-def: $vgpr18
                                        ; implicit-def: $vgpr26
                                        ; implicit-def: $vgpr34
                                        ; implicit-def: $vgpr22
                                        ; implicit-def: $vgpr30
	s_and_saveexec_b32 s4, vcc_lo
	s_cbranch_execz .LBB0_5
; %bb.4:
	v_add_nc_u32_e32 v0, 0x400, v115
	v_add_nc_u32_e32 v1, 0x800, v115
	;; [unrolled: 1-line block ×3, first 2 shown]
	ds_load_2addr_b64 v[4:7], v115 offset1:98
	v_add_nc_u32_e32 v3, 0x2000, v115
	ds_load_2addr_b64 v[28:31], v0 offset0:68 offset1:166
	ds_load_2addr_b64 v[20:23], v1 offset0:136 offset1:234
	v_add_nc_u32_e32 v0, 0x1800, v115
	v_add_nc_u32_e32 v1, 0x1c00, v115
	;; [unrolled: 1-line block ×3, first 2 shown]
	ds_load_2addr_b64 v[32:35], v2 offset0:76 offset1:174
	ds_load_2addr_b64 v[24:27], v0 offset0:16 offset1:114
	;; [unrolled: 1-line block ×5, first 2 shown]
	ds_load_b64 v[36:37], v115 offset:12544
.LBB0_5:
	s_or_b32 exec_lo, exec_lo, s4
	s_waitcnt lgkmcnt(0)
	v_dual_sub_f32 v99, v7, v37 :: v_dual_add_f32 v50, v36, v6
	v_dual_sub_f32 v107, v6, v36 :: v_dual_sub_f32 v126, v20, v14
	s_delay_alu instid0(VALU_DEP_2) | instskip(SKIP_1) | instid1(VALU_DEP_3)
	v_dual_sub_f32 v119, v23, v13 :: v_dual_mul_f32 v58, 0xbeb8f4ab, v99
	v_add_f32_e32 v51, v37, v7
	v_mul_f32_e32 v76, 0xbf2c7751, v107
	v_dual_mul_f32 v86, 0xbf65296c, v99 :: v_dual_add_f32 v53, v11, v29
	s_delay_alu instid0(VALU_DEP_4) | instskip(SKIP_1) | instid1(VALU_DEP_4)
	v_fmamk_f32 v0, v50, 0x3f6eb680, v58
	v_mul_f32_e32 v63, 0xbeb8f4ab, v107
	v_fma_f32 v3, 0x3f3d2fb0, v51, -v76
	v_dual_add_f32 v56, v14, v20 :: v_dual_mul_f32 v117, 0x3f763a35, v126
	s_delay_alu instid0(VALU_DEP_4) | instskip(NEXT) | instid1(VALU_DEP_4)
	v_add_f32_e32 v0, v0, v4
	v_fma_f32 v1, 0x3f6eb680, v51, -v63
	s_delay_alu instid0(VALU_DEP_4) | instskip(SKIP_1) | instid1(VALU_DEP_2)
	v_dual_mul_f32 v72, 0xbf2c7751, v99 :: v_dual_add_f32 v3, v3, v5
	v_dual_sub_f32 v112, v21, v15 :: v_dual_sub_f32 v113, v28, v10
	v_dual_add_f32 v1, v1, v5 :: v_dual_fmamk_f32 v2, v50, 0x3f3d2fb0, v72
	v_sub_f32_e32 v102, v29, v11
	v_dual_add_f32 v60, v13, v23 :: v_dual_add_f32 v67, v19, v33
	s_delay_alu instid0(VALU_DEP_4) | instskip(NEXT) | instid1(VALU_DEP_4)
	v_dual_mul_f32 v84, 0xbf7ee86f, v113 :: v_dual_sub_f32 v121, v30, v8
	v_dual_mul_f32 v105, 0xbf4c4adb, v113 :: v_dual_add_f32 v2, v2, v4
	s_delay_alu instid0(VALU_DEP_4) | instskip(NEXT) | instid1(VALU_DEP_3)
	v_mul_f32_e32 v61, 0xbf2c7751, v102
	v_fma_f32 v43, 0x3dbcf732, v53, -v84
	v_mul_f32_e32 v62, 0xbf2c7751, v113
	v_dual_add_f32 v52, v10, v28 :: v_dual_mul_f32 v91, 0xbf4c4adb, v102
	v_dual_add_f32 v54, v8, v30 :: v_dual_mul_f32 v87, 0xbf4c4adb, v121
	s_delay_alu instid0(VALU_DEP_4) | instskip(NEXT) | instid1(VALU_DEP_4)
	v_add_f32_e32 v3, v43, v3
	v_fma_f32 v41, 0x3f3d2fb0, v53, -v62
	v_mul_f32_e32 v96, 0xbf65296c, v107
	v_dual_fmamk_f32 v40, v52, 0x3f3d2fb0, v61 :: v_dual_add_f32 v55, v9, v31
	v_sub_f32_e32 v104, v31, v9
	s_delay_alu instid0(VALU_DEP_4) | instskip(NEXT) | instid1(VALU_DEP_4)
	v_add_f32_e32 v1, v41, v1
	v_fma_f32 v39, 0x3ee437d1, v51, -v96
	v_fmamk_f32 v38, v50, 0x3ee437d1, v86
	v_dual_mul_f32 v77, 0xbf7ee86f, v102 :: v_dual_add_f32 v0, v40, v0
	v_mul_f32_e32 v65, 0xbf65296c, v121
	s_delay_alu instid0(VALU_DEP_3) | instskip(SKIP_1) | instid1(VALU_DEP_4)
	v_dual_add_f32 v39, v39, v5 :: v_dual_add_f32 v38, v38, v4
	v_fma_f32 v41, 0xbf1a4643, v53, -v105
	v_fmamk_f32 v42, v52, 0x3dbcf732, v77
	v_sub_f32_e32 v134, v32, v18
	v_dual_add_f32 v66, v18, v32 :: v_dual_mul_f32 v109, 0x3e3c28d5, v121
	s_delay_alu instid0(VALU_DEP_4) | instskip(SKIP_1) | instid1(VALU_DEP_4)
	v_add_f32_e32 v39, v41, v39
	v_fma_f32 v41, 0x3ee437d1, v55, -v65
	v_mul_f32_e32 v83, 0xbf4c4adb, v134
	v_mul_f32_e32 v98, 0x3e3c28d5, v104
	v_dual_fmamk_f32 v40, v52, 0xbf1a4643, v91 :: v_dual_add_f32 v57, v15, v21
	s_delay_alu instid0(VALU_DEP_4) | instskip(NEXT) | instid1(VALU_DEP_3)
	v_dual_add_f32 v1, v41, v1 :: v_dual_sub_f32 v128, v24, v26
	v_fmamk_f32 v41, v54, 0xbf7ba420, v98
	v_dual_add_f32 v2, v42, v2 :: v_dual_mul_f32 v85, 0xbf4c4adb, v104
	v_fma_f32 v42, 0xbf1a4643, v55, -v87
	v_mul_f32_e32 v64, 0xbf65296c, v104
	v_add_f32_e32 v38, v40, v38
	v_dual_mul_f32 v71, 0xbf7ee86f, v126 :: v_dual_add_f32 v78, v27, v25
	s_delay_alu instid0(VALU_DEP_4) | instskip(NEXT) | instid1(VALU_DEP_4)
	v_add_f32_e32 v3, v42, v3
	v_fmamk_f32 v40, v54, 0x3ee437d1, v64
	s_delay_alu instid0(VALU_DEP_4) | instskip(NEXT) | instid1(VALU_DEP_4)
	v_add_f32_e32 v38, v41, v38
	v_fma_f32 v41, 0x3dbcf732, v57, -v71
	v_mul_f32_e32 v130, 0xbf06c442, v128
	v_mul_f32_e32 v120, 0x3eb8f4ab, v128
	v_add_f32_e32 v0, v40, v0
	s_delay_alu instid0(VALU_DEP_4) | instskip(SKIP_3) | instid1(VALU_DEP_2)
	v_dual_fmamk_f32 v40, v54, 0xbf1a4643, v85 :: v_dual_add_f32 v1, v41, v1
	v_dual_mul_f32 v94, 0x3f763a35, v112 :: v_dual_add_f32 v59, v12, v22
	s_barrier
	v_sub_f32_e32 v131, v22, v12
	v_fmamk_f32 v43, v56, 0xbe8c1d8e, v94
	v_dual_add_f32 v2, v40, v2 :: v_dual_mul_f32 v69, 0xbf7ee86f, v112
	v_fma_f32 v40, 0xbf7ba420, v55, -v109
	v_mul_f32_e32 v90, 0xbe3c28d5, v112
	v_dual_mul_f32 v100, 0x3f06c442, v131 :: v_dual_sub_f32 v127, v35, v17
	v_mul_f32_e32 v75, 0xbf763a35, v131
	s_delay_alu instid0(VALU_DEP_4)
	v_add_f32_e32 v39, v40, v39
	v_fmamk_f32 v40, v56, 0x3dbcf732, v69
	v_mul_f32_e32 v92, 0xbe3c28d5, v126
	v_mul_f32_e32 v101, 0x3f2c7751, v119
	v_fma_f32 v41, 0xbe8c1d8e, v60, -v75
	v_dual_sub_f32 v132, v34, v16 :: v_dual_mul_f32 v111, 0x3f65296c, v127
	v_add_f32_e32 v0, v40, v0
	v_fma_f32 v40, 0xbf7ba420, v57, -v92
	v_mul_f32_e32 v97, 0x3f06c442, v119
	v_add_f32_e32 v1, v41, v1
	v_dual_add_f32 v70, v17, v35 :: v_dual_mul_f32 v133, 0xbf7ee86f, v132
	s_delay_alu instid0(VALU_DEP_4) | instskip(SKIP_4) | instid1(VALU_DEP_3)
	v_dual_add_f32 v3, v40, v3 :: v_dual_add_f32 v38, v43, v38
	v_fma_f32 v43, 0xbf59a7d5, v60, -v100
	v_fmamk_f32 v42, v56, 0xbf7ba420, v90
	v_fma_f32 v40, 0xbe8c1d8e, v57, -v117
	v_dual_mul_f32 v88, 0xbf06c442, v127 :: v_dual_add_f32 v73, v26, v24
	v_dual_add_f32 v3, v43, v3 :: v_dual_add_f32 v2, v42, v2
	s_delay_alu instid0(VALU_DEP_3)
	v_dual_add_f32 v39, v40, v39 :: v_dual_fmamk_f32 v42, v59, 0xbf59a7d5, v97
	v_sub_f32_e32 v125, v33, v19
	v_mul_f32_e32 v118, 0xbf7ee86f, v127
	v_mul_f32_e32 v123, 0x3f2c7751, v131
	buffer_gl0_inv
	v_dual_add_f32 v2, v42, v2 :: v_dual_mul_f32 v79, 0xbf4c4adb, v125
	v_fma_f32 v42, 0xbf1a4643, v67, -v83
	v_mul_f32_e32 v74, 0xbf763a35, v119
	v_dual_mul_f32 v103, 0x3f763a35, v125 :: v_dual_mul_f32 v106, 0x3f763a35, v134
	v_dual_mul_f32 v108, 0xbeb8f4ab, v125 :: v_dual_mul_f32 v129, 0xbeb8f4ab, v134
	s_delay_alu instid0(VALU_DEP_3) | instskip(NEXT) | instid1(VALU_DEP_3)
	v_dual_add_f32 v1, v42, v1 :: v_dual_fmamk_f32 v40, v59, 0xbe8c1d8e, v74
	v_fma_f32 v44, 0xbe8c1d8e, v67, -v106
	v_fmamk_f32 v41, v66, 0xbf1a4643, v79
	v_mul_f32_e32 v89, 0xbf06c442, v132
	v_mul_f32_e32 v95, 0xbe3c28d5, v128
	v_add_f32_e32 v0, v40, v0
	v_dual_fmamk_f32 v40, v59, 0x3f3d2fb0, v101 :: v_dual_add_f32 v3, v44, v3
	v_fmamk_f32 v43, v66, 0xbe8c1d8e, v103
	v_mul_f32_e32 v114, 0x3f65296c, v132
	s_delay_alu instid0(VALU_DEP_4) | instskip(NEXT) | instid1(VALU_DEP_4)
	v_add_f32_e32 v0, v41, v0
	v_add_f32_e32 v38, v40, v38
	v_fma_f32 v40, 0x3f3d2fb0, v60, -v123
	v_add_f32_e32 v2, v43, v2
	v_fma_f32 v43, 0xbf59a7d5, v70, -v89
	;; [unrolled: 2-line block ×3, first 2 shown]
	v_dual_add_f32 v39, v40, v39 :: v_dual_fmamk_f32 v40, v66, 0x3f6eb680, v108
	s_delay_alu instid0(VALU_DEP_4) | instskip(SKIP_1) | instid1(VALU_DEP_3)
	v_add_f32_e32 v1, v43, v1
	v_fma_f32 v43, 0xbf59a7d5, v78, -v130
	v_dual_fmamk_f32 v42, v68, 0xbf59a7d5, v88 :: v_dual_add_f32 v39, v41, v39
	s_delay_alu instid0(VALU_DEP_1) | instskip(SKIP_4) | instid1(VALU_DEP_3)
	v_dual_fmamk_f32 v41, v68, 0x3dbcf732, v118 :: v_dual_add_f32 v0, v42, v0
	v_sub_f32_e32 v124, v25, v27
	v_add_f32_e32 v38, v40, v38
	v_fma_f32 v42, 0x3dbcf732, v70, -v133
	v_fmamk_f32 v40, v68, 0x3ee437d1, v111
	v_dual_mul_f32 v93, 0xbe3c28d5, v124 :: v_dual_add_f32 v38, v41, v38
	s_delay_alu instid0(VALU_DEP_2) | instskip(SKIP_2) | instid1(VALU_DEP_2)
	v_dual_add_f32 v39, v42, v39 :: v_dual_add_f32 v2, v40, v2
	v_fma_f32 v40, 0x3ee437d1, v70, -v114
	v_fma_f32 v41, 0x3f6eb680, v78, -v120
	v_dual_add_f32 v3, v40, v3 :: v_dual_fmamk_f32 v40, v73, 0xbf7ba420, v93
	s_delay_alu instid0(VALU_DEP_1) | instskip(NEXT) | instid1(VALU_DEP_2)
	v_add_f32_e32 v3, v41, v3
	v_add_f32_e32 v81, v40, v0
	v_mul_f32_e32 v110, 0x3eb8f4ab, v124
	v_mul_f32_e32 v122, 0xbf06c442, v124
	v_fma_f32 v0, 0xbf7ba420, v78, -v95
	s_delay_alu instid0(VALU_DEP_3) | instskip(NEXT) | instid1(VALU_DEP_3)
	v_fmamk_f32 v40, v73, 0x3f6eb680, v110
	v_fmamk_f32 v42, v73, 0xbf59a7d5, v122
	s_delay_alu instid0(VALU_DEP_3) | instskip(NEXT) | instid1(VALU_DEP_3)
	v_dual_add_f32 v82, v0, v1 :: v_dual_add_f32 v1, v43, v39
	v_add_f32_e32 v2, v40, v2
	s_delay_alu instid0(VALU_DEP_3)
	v_add_f32_e32 v0, v42, v38
	s_and_saveexec_b32 s4, vcc_lo
	s_cbranch_execz .LBB0_7
; %bb.6:
	v_mul_f32_e32 v149, 0x3f2c7751, v104
	v_mul_f32_e32 v140, 0x3f3d2fb0, v55
	;; [unrolled: 1-line block ×5, first 2 shown]
	v_dual_mul_f32 v135, 0xbf1a4643, v78 :: v_dual_mul_f32 v48, 0xbf1a4643, v51
	v_fmamk_f32 v41, v121, 0xbf2c7751, v140
	v_mul_f32_e32 v147, 0xbf763a35, v99
	v_dual_fmamk_f32 v44, v52, 0xbe8c1d8e, v153 :: v_dual_mul_f32 v151, 0xbe8c1d8e, v53
	v_mul_f32_e32 v150, 0xbf65296c, v112
	v_dual_mul_f32 v144, 0x3f7ee86f, v125 :: v_dual_mul_f32 v159, 0x3f7ee86f, v119
	s_delay_alu instid0(VALU_DEP_4) | instskip(SKIP_3) | instid1(VALU_DEP_4)
	v_fmamk_f32 v40, v50, 0xbe8c1d8e, v147
	v_mul_f32_e32 v139, 0x3ee437d1, v57
	v_dual_mul_f32 v142, 0xbeb8f4ab, v127 :: v_dual_mul_f32 v155, 0xbeb8f4ab, v104
	v_mul_f32_e32 v157, 0xbf06c442, v112
	v_add_f32_e32 v40, v40, v4
	v_mul_f32_e32 v146, 0xbe8c1d8e, v51
	v_fmamk_f32 v42, v126, 0x3f65296c, v139
	v_mul_f32_e32 v161, 0xbf2c7751, v125
	v_mul_f32_e32 v158, 0x3f3d2fb0, v67
	v_dual_mul_f32 v164, 0x3f65296c, v124 :: v_dual_mul_f32 v167, 0x3f65296c, v102
	v_fmamk_f32 v38, v107, 0x3f763a35, v146
	v_mul_f32_e32 v137, 0x3dbcf732, v67
	v_mul_f32_e32 v47, 0x3ee437d1, v53
	;; [unrolled: 1-line block ×4, first 2 shown]
	v_add_f32_e32 v38, v38, v5
	v_mul_f32_e32 v141, 0xbf59a7d5, v53
	v_fmamk_f32 v168, v113, 0xbf65296c, v47
	v_mul_f32_e32 v154, 0xbf59a7d5, v57
	v_fmamk_f32 v166, v50, 0xbf59a7d5, v165
	v_fmamk_f32 v45, v73, 0x3ee437d1, v164
	;; [unrolled: 1-line block ×3, first 2 shown]
	v_dual_mul_f32 v162, 0xbe3c28d5, v127 :: v_dual_mul_f32 v175, 0xbe3c28d5, v125
	v_mul_f32_e32 v180, 0x3f6eb680, v53
	v_mul_f32_e32 v192, 0x3ee437d1, v67
	s_delay_alu instid0(VALU_DEP_4) | instskip(SKIP_2) | instid1(VALU_DEP_4)
	v_dual_add_f32 v38, v39, v38 :: v_dual_fmamk_f32 v39, v52, 0xbf59a7d5, v148
	v_mul_f32_e32 v181, 0xbe3c28d5, v99
	v_mul_f32_e32 v174, 0xbf7ba420, v67
	v_fmamk_f32 v194, v134, 0xbf65296c, v192
	s_delay_alu instid0(VALU_DEP_4) | instskip(SKIP_3) | instid1(VALU_DEP_4)
	v_dual_add_f32 v38, v41, v38 :: v_dual_fmamk_f32 v41, v54, 0x3f3d2fb0, v149
	v_add_f32_e32 v39, v39, v40
	v_mul_f32_e32 v138, 0xbf7ba420, v60
	v_fmac_f32_e32 v192, 0x3f65296c, v134
	v_add_f32_e32 v38, v42, v38
	s_delay_alu instid0(VALU_DEP_4) | instskip(NEXT) | instid1(VALU_DEP_4)
	v_dual_fmamk_f32 v42, v56, 0x3ee437d1, v150 :: v_dual_add_f32 v39, v41, v39
	v_fmamk_f32 v40, v131, 0x3e3c28d5, v138
	v_fmamk_f32 v43, v107, 0x3f4c4adb, v48
	;; [unrolled: 1-line block ×3, first 2 shown]
	s_delay_alu instid0(VALU_DEP_4) | instskip(NEXT) | instid1(VALU_DEP_4)
	v_dual_fmamk_f32 v182, v113, 0xbeb8f4ab, v180 :: v_dual_add_f32 v39, v42, v39
	v_add_f32_e32 v38, v40, v38
	v_fmamk_f32 v40, v59, 0xbf7ba420, v143
	v_mul_f32_e32 v136, 0x3f6eb680, v70
	v_mul_f32_e32 v156, 0x3dbcf732, v60
	s_delay_alu instid0(VALU_DEP_4) | instskip(NEXT) | instid1(VALU_DEP_4)
	v_dual_fmamk_f32 v185, v50, 0xbf7ba420, v181 :: v_dual_add_f32 v38, v41, v38
	v_add_f32_e32 v39, v40, v39
	v_fmamk_f32 v40, v128, 0x3f4c4adb, v135
	v_fmamk_f32 v42, v132, 0x3eb8f4ab, v136
	;; [unrolled: 1-line block ×3, first 2 shown]
	v_dual_mul_f32 v46, 0xbf59a7d5, v51 :: v_dual_add_f32 v185, v185, v4
	v_mul_f32_e32 v170, 0xbf1a4643, v57
	s_delay_alu instid0(VALU_DEP_4) | instskip(NEXT) | instid1(VALU_DEP_4)
	v_add_f32_e32 v38, v42, v38
	v_dual_fmamk_f32 v42, v68, 0x3f6eb680, v142 :: v_dual_add_f32 v41, v41, v39
	v_mul_f32_e32 v172, 0x3f6eb680, v60
	v_dual_mul_f32 v176, 0x3f3d2fb0, v70 :: v_dual_mul_f32 v187, 0x3f3d2fb0, v57
	s_delay_alu instid0(VALU_DEP_3)
	v_dual_add_f32 v39, v40, v38 :: v_dual_add_f32 v38, v42, v41
	v_dual_add_f32 v40, v43, v5 :: v_dual_fmamk_f32 v41, v113, 0xbf763a35, v151
	v_mul_f32_e32 v49, 0xbf4c4adb, v99
	v_mul_f32_e32 v145, 0xbf4c4adb, v124
	;; [unrolled: 1-line block ×3, first 2 shown]
	v_dual_mul_f32 v178, 0x3f2c7751, v127 :: v_dual_mul_f32 v191, 0x3f2c7751, v112
	s_delay_alu instid0(VALU_DEP_4) | instskip(NEXT) | instid1(VALU_DEP_4)
	v_dual_add_f32 v40, v41, v40 :: v_dual_fmamk_f32 v43, v50, 0xbf1a4643, v49
	v_fmamk_f32 v42, v73, 0xbf1a4643, v145
	v_mul_f32_e32 v183, 0xbf59a7d5, v55
	v_fma_f32 v49, 0xbf1a4643, v50, -v49
	v_fmac_f32_e32 v151, 0x3f763a35, v113
	s_delay_alu instid0(VALU_DEP_4) | instskip(SKIP_3) | instid1(VALU_DEP_4)
	v_dual_add_f32 v43, v43, v4 :: v_dual_add_f32 v38, v42, v38
	v_mul_f32_e32 v169, 0x3dbcf732, v55
	v_fma_f32 v147, 0xbe8c1d8e, v50, -v147
	v_fma_f32 v148, 0xbf59a7d5, v52, -v148
	v_dual_add_f32 v43, v44, v43 :: v_dual_fmamk_f32 v44, v54, 0x3f6eb680, v155
	v_fma_f32 v150, 0x3ee437d1, v56, -v150
	v_fma_f32 v143, 0xbf7ba420, v59, -v143
	;; [unrolled: 1-line block ×3, first 2 shown]
	v_fmac_f32_e32 v146, 0xbf763a35, v107
	v_add_f32_e32 v43, v44, v43
	v_fmamk_f32 v44, v56, 0xbf59a7d5, v157
	v_fmac_f32_e32 v140, 0x3f2c7751, v121
	v_fma_f32 v155, 0x3f6eb680, v54, -v155
	v_add_f32_e32 v146, v146, v5
	v_fma_f32 v142, 0x3f6eb680, v68, -v142
	v_dual_add_f32 v43, v44, v43 :: v_dual_fmamk_f32 v44, v59, 0x3dbcf732, v159
	v_fmac_f32_e32 v136, 0xbeb8f4ab, v132
	v_fma_f32 v145, 0xbf1a4643, v73, -v145
	v_fmac_f32_e32 v137, 0x3f7ee86f, v134
	v_fmac_f32_e32 v48, 0xbf4c4adb, v107
	v_dual_add_f32 v42, v44, v43 :: v_dual_fmamk_f32 v43, v66, 0x3f3d2fb0, v161
	v_mul_f32_e32 v152, 0x3f6eb680, v55
	s_delay_alu instid0(VALU_DEP_3) | instskip(SKIP_1) | instid1(VALU_DEP_3)
	v_dual_fmac_f32 v139, 0xbf65296c, v126 :: v_dual_add_f32 v48, v48, v5
	v_fmac_f32_e32 v180, 0x3eb8f4ab, v113
	v_dual_add_f32 v6, v6, v4 :: v_dual_fmamk_f32 v41, v121, 0x3eb8f4ab, v152
	v_mul_f32_e32 v163, 0x3ee437d1, v78
	v_fmamk_f32 v177, v66, 0xbf7ba420, v175
	v_add_f32_e32 v151, v151, v48
	s_delay_alu instid0(VALU_DEP_4) | instskip(SKIP_4) | instid1(VALU_DEP_4)
	v_dual_mul_f32 v173, 0xbeb8f4ab, v119 :: v_dual_add_f32 v40, v41, v40
	v_dual_fmamk_f32 v41, v126, 0x3f06c442, v154 :: v_dual_add_f32 v6, v28, v6
	v_fmamk_f32 v44, v128, 0xbf65296c, v163
	v_mul_f32_e32 v193, 0xbf4c4adb, v119
	v_add_f32_e32 v147, v147, v4
	v_dual_add_f32 v40, v41, v40 :: v_dual_fmamk_f32 v41, v131, 0xbf7ee86f, v156
	v_fmac_f32_e32 v156, 0x3f7ee86f, v131
	v_fma_f32 v153, 0xbe8c1d8e, v52, -v153
	s_delay_alu instid0(VALU_DEP_4) | instskip(NEXT) | instid1(VALU_DEP_4)
	v_dual_add_f32 v6, v30, v6 :: v_dual_add_f32 v147, v148, v147
	v_dual_add_f32 v40, v41, v40 :: v_dual_fmamk_f32 v41, v134, 0x3f2c7751, v158
	v_fma_f32 v148, 0x3f3d2fb0, v54, -v149
	s_delay_alu instid0(VALU_DEP_3) | instskip(SKIP_1) | instid1(VALU_DEP_4)
	v_dual_add_f32 v6, v20, v6 :: v_dual_mul_f32 v149, 0xbf1a4643, v55
	v_fmac_f32_e32 v163, 0x3f65296c, v128
	v_dual_add_f32 v40, v41, v40 :: v_dual_fmamk_f32 v41, v132, 0x3e3c28d5, v160
	s_delay_alu instid0(VALU_DEP_4) | instskip(NEXT) | instid1(VALU_DEP_4)
	v_add_f32_e32 v147, v148, v147
	v_dual_mul_f32 v148, 0xbf7ba420, v55 :: v_dual_add_f32 v87, v87, v149
	v_add_f32_e32 v6, v22, v6
	s_delay_alu instid0(VALU_DEP_4) | instskip(SKIP_4) | instid1(VALU_DEP_4)
	v_dual_add_f32 v40, v41, v40 :: v_dual_add_f32 v41, v43, v42
	v_fmamk_f32 v42, v68, 0xbf7ba420, v162
	v_dual_fmac_f32 v152, 0xbeb8f4ab, v121 :: v_dual_add_f32 v147, v150, v147
	v_mul_f32_e32 v150, 0x3dbcf732, v57
	v_add_f32_e32 v6, v32, v6
	v_dual_add_f32 v42, v42, v41 :: v_dual_add_f32 v41, v44, v40
	v_add_f32_e32 v40, v166, v4
	v_fmamk_f32 v44, v52, 0x3ee437d1, v167
	v_mul_f32_e32 v166, 0xbf7ee86f, v104
	v_fma_f32 v167, 0x3ee437d1, v52, -v167
	v_fmac_f32_e32 v47, 0x3f65296c, v113
	s_delay_alu instid0(VALU_DEP_4) | instskip(NEXT) | instid1(VALU_DEP_4)
	v_dual_add_f32 v143, v143, v147 :: v_dual_add_f32 v40, v44, v40
	v_fmamk_f32 v44, v54, 0x3dbcf732, v166
	v_fmamk_f32 v43, v107, 0x3f06c442, v46
	v_fma_f32 v166, 0x3dbcf732, v54, -v166
	v_mul_f32_e32 v186, 0x3eb8f4ab, v102
	v_fmac_f32_e32 v46, 0xbf06c442, v107
	s_delay_alu instid0(VALU_DEP_4) | instskip(SKIP_1) | instid1(VALU_DEP_4)
	v_dual_add_f32 v40, v44, v40 :: v_dual_add_f32 v43, v43, v5
	v_dual_fmac_f32 v158, 0xbf2c7751, v134 :: v_dual_add_f32 v143, v144, v143
	v_fmamk_f32 v188, v52, 0x3f6eb680, v186
	s_delay_alu instid0(VALU_DEP_3) | instskip(SKIP_2) | instid1(VALU_DEP_3)
	v_dual_add_f32 v46, v46, v5 :: v_dual_add_f32 v43, v168, v43
	v_fmamk_f32 v168, v121, 0x3f7ee86f, v169
	v_fmac_f32_e32 v169, 0xbf7ee86f, v121
	v_dual_add_f32 v185, v188, v185 :: v_dual_add_f32 v46, v47, v46
	s_delay_alu instid0(VALU_DEP_3) | instskip(SKIP_2) | instid1(VALU_DEP_4)
	v_dual_fmac_f32 v154, 0xbf06c442, v126 :: v_dual_add_f32 v43, v168, v43
	v_fmamk_f32 v168, v126, 0xbf4c4adb, v170
	v_add_f32_e32 v142, v142, v143
	v_add_f32_e32 v46, v169, v46
	v_dual_add_f32 v6, v34, v6 :: v_dual_add_f32 v151, v152, v151
	s_delay_alu instid0(VALU_DEP_4) | instskip(SKIP_1) | instid1(VALU_DEP_3)
	v_dual_add_f32 v43, v168, v43 :: v_dual_fmamk_f32 v168, v131, 0x3eb8f4ab, v172
	v_fmac_f32_e32 v160, 0xbe3c28d5, v132
	v_dual_add_f32 v6, v24, v6 :: v_dual_add_f32 v151, v154, v151
	v_add_f32_e32 v109, v109, v148
	s_delay_alu instid0(VALU_DEP_4) | instskip(SKIP_1) | instid1(VALU_DEP_4)
	v_dual_add_f32 v43, v168, v43 :: v_dual_fmamk_f32 v168, v134, 0x3e3c28d5, v174
	v_mul_f32_e32 v171, 0x3f4c4adb, v112
	v_dual_fmac_f32 v174, 0xbe3c28d5, v134 :: v_dual_add_f32 v151, v156, v151
	v_mul_f32_e32 v156, 0x3ee437d1, v51
	v_mul_f32_e32 v148, 0xbf59a7d5, v60
	s_delay_alu instid0(VALU_DEP_4) | instskip(SKIP_3) | instid1(VALU_DEP_4)
	v_fmamk_f32 v44, v56, 0xbf1a4643, v171
	v_mul_f32_e32 v102, 0xbe3c28d5, v102
	v_dual_mul_f32 v112, 0x3eb8f4ab, v112 :: v_dual_add_f32 v151, v158, v151
	v_add_f32_e32 v96, v96, v156
	v_add_f32_e32 v40, v44, v40
	v_fma_f32 v165, 0xbf59a7d5, v50, -v165
	v_fmamk_f32 v44, v59, 0x3f6eb680, v173
	v_dual_mul_f32 v158, 0x3f3d2fb0, v53 :: v_dual_add_f32 v151, v160, v151
	v_fmac_f32_e32 v141, 0x3f06c442, v113
	s_delay_alu instid0(VALU_DEP_4) | instskip(NEXT) | instid1(VALU_DEP_4)
	v_add_f32_e32 v165, v165, v4
	v_add_f32_e32 v44, v44, v40
	;; [unrolled: 1-line block ×4, first 2 shown]
	v_fmamk_f32 v43, v132, 0xbf2c7751, v176
	v_mul_f32_e32 v45, 0xbf7ba420, v51
	v_dual_add_f32 v165, v167, v165 :: v_dual_add_f32 v44, v177, v44
	v_mul_f32_e32 v177, 0xbe8c1d8e, v78
	s_delay_alu instid0(VALU_DEP_4) | instskip(NEXT) | instid1(VALU_DEP_4)
	v_add_f32_e32 v42, v43, v42
	v_fmamk_f32 v43, v107, 0x3e3c28d5, v45
	v_fmac_f32_e32 v45, 0xbe3c28d5, v107
	v_add_f32_e32 v165, v166, v165
	v_fma_f32 v166, 0xbf1a4643, v56, -v171
	s_delay_alu instid0(VALU_DEP_4) | instskip(NEXT) | instid1(VALU_DEP_4)
	v_dual_fmac_f32 v176, 0x3f2c7751, v132 :: v_dual_add_f32 v43, v43, v5
	v_add_f32_e32 v45, v45, v5
	v_add_f32_e32 v96, v96, v5
	s_delay_alu instid0(VALU_DEP_4) | instskip(SKIP_4) | instid1(VALU_DEP_4)
	v_add_f32_e32 v165, v166, v165
	v_fma_f32 v166, 0x3f6eb680, v59, -v173
	v_dual_add_f32 v43, v182, v43 :: v_dual_fmamk_f32 v182, v121, 0x3f06c442, v183
	v_add_f32_e32 v45, v180, v45
	v_fmac_f32_e32 v183, 0xbf06c442, v121
	v_dual_fmamk_f32 v168, v68, 0x3f3d2fb0, v178 :: v_dual_add_f32 v165, v166, v165
	s_delay_alu instid0(VALU_DEP_4) | instskip(NEXT) | instid1(VALU_DEP_3)
	v_add_f32_e32 v43, v182, v43
	v_dual_fmamk_f32 v182, v126, 0xbf2c7751, v187 :: v_dual_add_f32 v45, v183, v45
	s_delay_alu instid0(VALU_DEP_3) | instskip(NEXT) | instid1(VALU_DEP_2)
	v_dual_add_f32 v44, v168, v44 :: v_dual_fmac_f32 v187, 0x3f2c7751, v126
	v_dual_fmamk_f32 v168, v128, 0x3f763a35, v177 :: v_dual_add_f32 v43, v182, v43
	v_fmamk_f32 v182, v131, 0x3f4c4adb, v190
	v_mul_f32_e32 v179, 0xbf763a35, v124
	v_fma_f32 v166, 0xbf7ba420, v66, -v175
	v_add_f32_e32 v187, v187, v45
	v_fma_f32 v183, 0x3f6eb680, v52, -v186
	v_add_f32_e32 v182, v182, v43
	v_fmamk_f32 v184, v73, 0xbe8c1d8e, v179
	v_mul_f32_e32 v189, 0xbf06c442, v104
	v_add_f32_e32 v43, v168, v42
	v_add_f32_e32 v165, v166, v165
	;; [unrolled: 1-line block ×3, first 2 shown]
	v_fma_f32 v166, 0x3f3d2fb0, v68, -v178
	v_fmamk_f32 v188, v54, 0xbf59a7d5, v189
	v_fmac_f32_e32 v170, 0x3f4c4adb, v126
	v_fmac_f32_e32 v172, 0xbeb8f4ab, v131
	v_dual_mul_f32 v194, 0xbf763a35, v127 :: v_dual_fmac_f32 v177, 0xbf763a35, v128
	s_delay_alu instid0(VALU_DEP_4) | instskip(SKIP_2) | instid1(VALU_DEP_4)
	v_add_f32_e32 v185, v188, v185
	v_dual_fmamk_f32 v188, v56, 0x3f3d2fb0, v191 :: v_dual_add_f32 v165, v166, v165
	v_add_f32_e32 v46, v170, v46
	v_fmamk_f32 v196, v68, 0xbe8c1d8e, v194
	v_fmac_f32_e32 v190, 0xbf4c4adb, v131
	s_delay_alu instid0(VALU_DEP_4) | instskip(SKIP_4) | instid1(VALU_DEP_4)
	v_add_f32_e32 v42, v188, v185
	v_fma_f32 v180, 0xbf7ba420, v50, -v181
	v_mul_f32_e32 v188, 0xbe8c1d8e, v70
	v_mul_f32_e32 v181, 0x3dbcf732, v78
	v_dual_add_f32 v46, v172, v46 :: v_dual_mul_f32 v185, 0x3f65296c, v125
	v_add_f32_e32 v180, v180, v4
	s_delay_alu instid0(VALU_DEP_4) | instskip(SKIP_1) | instid1(VALU_DEP_3)
	v_fmamk_f32 v195, v132, 0x3f763a35, v188
	v_dual_fmac_f32 v188, 0xbf763a35, v132 :: v_dual_add_f32 v141, v141, v146
	v_dual_add_f32 v169, v174, v46 :: v_dual_add_f32 v180, v183, v180
	v_fma_f32 v183, 0xbf59a7d5, v54, -v189
	v_fmamk_f32 v168, v59, 0xbf1a4643, v193
	v_fma_f32 v167, 0x3ee437d1, v66, -v185
	v_fma_f32 v166, 0xbe8c1d8e, v73, -v179
	s_delay_alu instid0(VALU_DEP_4)
	v_dual_mul_f32 v125, 0xbf06c442, v125 :: v_dual_add_f32 v180, v183, v180
	v_fma_f32 v183, 0x3f3d2fb0, v56, -v191
	v_add_f32_e32 v42, v168, v42
	v_fmamk_f32 v168, v66, 0x3ee437d1, v185
	v_add_f32_e32 v48, v166, v165
	v_mul_f32_e32 v166, 0x3f6eb680, v51
	v_add_f32_e32 v180, v183, v180
	v_fma_f32 v183, 0xbf1a4643, v59, -v193
	v_add_f32_e32 v168, v168, v42
	v_dual_add_f32 v42, v184, v44 :: v_dual_mul_f32 v165, 0x3f6eb680, v50
	v_add_f32_e32 v44, v195, v182
	v_mul_f32_e32 v182, 0x3f7ee86f, v124
	v_fmamk_f32 v184, v128, 0xbf7ee86f, v181
	v_fmac_f32_e32 v181, 0x3f7ee86f, v128
	v_add_f32_e32 v168, v196, v168
	v_mul_f32_e32 v132, 0x3f4c4adb, v132
	s_delay_alu instid0(VALU_DEP_4) | instskip(SKIP_2) | instid1(VALU_DEP_3)
	v_dual_fmamk_f32 v186, v73, 0x3dbcf732, v182 :: v_dual_add_f32 v45, v184, v44
	v_sub_f32_e32 v58, v165, v58
	v_dual_add_f32 v140, v140, v141 :: v_dual_fmac_f32 v135, 0xbf4c4adb, v128
	v_add_f32_e32 v44, v186, v168
	v_add_f32_e32 v168, v190, v187
	v_mul_f32_e32 v128, 0x3f2c7751, v128
	v_add_f32_e32 v58, v58, v4
	v_dual_add_f32 v139, v139, v140 :: v_dual_mul_f32 v140, 0xbf7ba420, v54
	s_delay_alu instid0(VALU_DEP_4) | instskip(SKIP_3) | instid1(VALU_DEP_4)
	v_add_f32_e32 v47, v192, v168
	v_dual_add_f32 v168, v183, v180 :: v_dual_mul_f32 v141, 0xbf1a4643, v54
	v_mul_f32_e32 v107, 0xbf7ee86f, v107
	v_mul_f32_e32 v143, 0xbe8c1d8e, v56
	v_add_f32_e32 v47, v188, v47
	s_delay_alu instid0(VALU_DEP_4) | instskip(SKIP_1) | instid1(VALU_DEP_4)
	v_add_f32_e32 v167, v167, v168
	v_fma_f32 v168, 0xbe8c1d8e, v68, -v194
	v_dual_mul_f32 v113, 0xbe3c28d5, v113 :: v_dual_sub_f32 v94, v143, v94
	s_delay_alu instid0(VALU_DEP_4) | instskip(NEXT) | instid1(VALU_DEP_3)
	v_dual_mul_f32 v104, 0x3f763a35, v104 :: v_dual_add_f32 v47, v181, v47
	v_add_f32_e32 v167, v168, v167
	v_fma_f32 v168, 0x3dbcf732, v73, -v182
	s_delay_alu instid0(VALU_DEP_4)
	v_fmamk_f32 v147, v53, 0xbf7ba420, v113
	v_mul_f32_e32 v121, 0x3f763a35, v121
	v_mul_f32_e32 v99, 0xbf7ee86f, v99
	;; [unrolled: 1-line block ×3, first 2 shown]
	v_add_f32_e32 v46, v168, v167
	v_add_f32_e32 v168, v49, v4
	v_dual_fmamk_f32 v144, v55, 0xbe8c1d8e, v121 :: v_dual_add_f32 v167, v176, v169
	v_mul_f32_e32 v149, 0xbf59a7d5, v73
	v_add_f32_e32 v7, v7, v5
	s_delay_alu instid0(VALU_DEP_4) | instskip(NEXT) | instid1(VALU_DEP_4)
	v_add_f32_e32 v153, v153, v168
	v_add_f32_e32 v49, v177, v167
	s_delay_alu instid0(VALU_DEP_2)
	v_dual_add_f32 v7, v29, v7 :: v_dual_add_f32 v152, v155, v153
	v_fma_f32 v153, 0xbf59a7d5, v56, -v157
	v_mul_f32_e32 v155, 0x3f3d2fb0, v50
	v_fmac_f32_e32 v138, 0xbe3c28d5, v131
	v_mul_f32_e32 v131, 0xbf65296c, v131
	v_mul_f32_e32 v157, 0x3ee437d1, v50
	v_add_f32_e32 v7, v31, v7
	s_delay_alu instid0(VALU_DEP_4)
	v_dual_sub_f32 v155, v155, v72 :: v_dual_add_f32 v138, v138, v139
	v_mul_f32_e32 v139, 0x3dbcf732, v56
	v_add_f32_e32 v152, v153, v152
	v_fma_f32 v153, 0x3dbcf732, v59, -v159
	v_mul_f32_e32 v159, 0x3f3d2fb0, v52
	v_dual_add_f32 v137, v137, v138 :: v_dual_fmamk_f32 v138, v51, 0x3dbcf732, v107
	v_sub_f32_e32 v30, v139, v69
	s_delay_alu instid0(VALU_DEP_4)
	v_add_f32_e32 v152, v153, v152
	v_fma_f32 v153, 0x3f3d2fb0, v66, -v161
	v_fma_f32 v161, 0xbf7ba420, v68, -v162
	;; [unrolled: 1-line block ×3, first 2 shown]
	v_add_f32_e32 v138, v138, v5
	v_add_f32_e32 v136, v136, v137
	;; [unrolled: 1-line block ×3, first 2 shown]
	v_mul_f32_e32 v153, 0x3dbcf732, v52
	v_mul_f32_e32 v126, 0x3eb8f4ab, v126
	v_add_f32_e32 v138, v147, v138
	v_add_f32_e32 v136, v135, v136
	v_dual_add_f32 v161, v161, v152 :: v_dual_add_f32 v152, v163, v151
	v_mul_f32_e32 v137, 0xbf7ba420, v56
	v_add_f32_e32 v135, v145, v142
	v_mul_f32_e32 v145, 0xbe8c1d8e, v59
	s_delay_alu instid0(VALU_DEP_4) | instskip(SKIP_4) | instid1(VALU_DEP_4)
	v_add_f32_e32 v151, v162, v161
	v_mul_f32_e32 v161, 0xbf1a4643, v53
	v_mul_f32_e32 v154, 0x3f3d2fb0, v51
	v_dual_add_f32 v138, v144, v138 :: v_dual_sub_f32 v77, v153, v77
	v_fmamk_f32 v144, v57, 0x3f6eb680, v126
	v_add_f32_e32 v105, v105, v161
	v_fma_f32 v161, 0xbf7ba420, v52, -v102
	v_dual_add_f32 v76, v76, v154 :: v_dual_mul_f32 v147, 0xbf7ba420, v57
	v_mul_f32_e32 v142, 0xbe8c1d8e, v57
	s_delay_alu instid0(VALU_DEP_4) | instskip(SKIP_3) | instid1(VALU_DEP_4)
	v_dual_add_f32 v96, v105, v96 :: v_dual_mul_f32 v105, 0xbf59a7d5, v59
	v_add_f32_e32 v138, v144, v138
	v_fmamk_f32 v144, v60, 0x3ee437d1, v131
	v_add_f32_e32 v76, v76, v5
	v_add_f32_e32 v96, v109, v96
	v_fma_f32 v109, 0x3f6eb680, v56, -v112
	v_mul_f32_e32 v134, 0xbf06c442, v134
	v_add_f32_e32 v138, v144, v138
	v_fma_f32 v144, 0x3dbcf732, v50, -v99
	v_mul_f32_e32 v163, 0xbf59a7d5, v68
	v_fmac_f32_e32 v99, 0x3dbcf732, v50
	v_fmamk_f32 v156, v67, 0xbf59a7d5, v134
	s_delay_alu instid0(VALU_DEP_4) | instskip(SKIP_1) | instid1(VALU_DEP_2)
	v_dual_sub_f32 v61, v159, v61 :: v_dual_add_f32 v144, v144, v4
	v_dual_add_f32 v7, v21, v7 :: v_dual_sub_f32 v98, v140, v98
	v_add_f32_e32 v58, v61, v58
	s_delay_alu instid0(VALU_DEP_3) | instskip(SKIP_1) | instid1(VALU_DEP_1)
	v_add_f32_e32 v144, v161, v144
	v_fma_f32 v161, 0xbe8c1d8e, v54, -v104
	v_dual_add_f32 v7, v23, v7 :: v_dual_add_f32 v144, v161, v144
	v_mul_f32_e32 v160, 0x3dbcf732, v53
	v_dual_mul_f32 v161, 0x3f3d2fb0, v59 :: v_dual_add_f32 v62, v62, v158
	s_delay_alu instid0(VALU_DEP_3) | instskip(NEXT) | instid1(VALU_DEP_4)
	v_add_f32_e32 v7, v33, v7
	v_add_f32_e32 v109, v109, v144
	s_delay_alu instid0(VALU_DEP_4) | instskip(SKIP_1) | instid1(VALU_DEP_4)
	v_add_f32_e32 v84, v84, v160
	v_fmamk_f32 v144, v70, 0xbf1a4643, v132
	v_dual_mul_f32 v160, 0xbf7ba420, v73 :: v_dual_add_f32 v7, v35, v7
	s_delay_alu instid0(VALU_DEP_3) | instskip(NEXT) | instid1(VALU_DEP_2)
	v_add_f32_e32 v76, v84, v76
	v_dual_fmamk_f32 v84, v78, 0x3f3d2fb0, v128 :: v_dual_add_f32 v7, v25, v7
	s_delay_alu instid0(VALU_DEP_2) | instskip(SKIP_2) | instid1(VALU_DEP_2)
	v_dual_add_f32 v76, v87, v76 :: v_dual_add_f32 v87, v92, v147
	v_add_f32_e32 v117, v117, v142
	v_add_f32_e32 v92, v63, v166
	v_dual_add_f32 v7, v27, v7 :: v_dual_add_f32 v96, v117, v96
	v_fma_f32 v117, 0x3ee437d1, v59, -v119
	v_mul_f32_e32 v164, 0xbf1a4643, v52
	v_fmac_f32_e32 v119, 0x3ee437d1, v59
	s_delay_alu instid0(VALU_DEP_4) | instskip(NEXT) | instid1(VALU_DEP_4)
	v_add_f32_e32 v17, v17, v7
	v_add_f32_e32 v109, v117, v109
	v_fma_f32 v117, 0xbf59a7d5, v66, -v125
	v_dual_mul_f32 v146, 0x3ee437d1, v54 :: v_dual_sub_f32 v91, v164, v91
	s_delay_alu instid0(VALU_DEP_4) | instskip(NEXT) | instid1(VALU_DEP_3)
	v_dual_mul_f32 v164, 0x3f6eb680, v78 :: v_dual_add_f32 v17, v19, v17
	v_add_f32_e32 v109, v117, v109
	v_dual_mul_f32 v117, 0x3f4c4adb, v127 :: v_dual_add_f32 v138, v156, v138
	v_mul_f32_e32 v127, 0x3dbcf732, v70
	v_dual_sub_f32 v86, v157, v86 :: v_dual_sub_f32 v31, v146, v64
	v_mul_f32_e32 v140, 0x3dbcf732, v68
	s_delay_alu instid0(VALU_DEP_4) | instskip(SKIP_1) | instid1(VALU_DEP_4)
	v_add_f32_e32 v138, v144, v138
	v_mul_f32_e32 v144, 0x3f6eb680, v67
	v_dual_add_f32 v127, v133, v127 :: v_dual_add_f32 v86, v86, v4
	v_mul_f32_e32 v133, 0x3f6eb680, v66
	s_delay_alu instid0(VALU_DEP_4) | instskip(SKIP_1) | instid1(VALU_DEP_4)
	v_add_f32_e32 v72, v84, v138
	v_add_f32_e32 v84, v155, v4
	v_dual_add_f32 v129, v129, v144 :: v_dual_add_f32 v86, v91, v86
	v_mul_f32_e32 v91, 0x3ee437d1, v70
	v_add_f32_e32 v21, v31, v58
	s_delay_alu instid0(VALU_DEP_4) | instskip(SKIP_4) | instid1(VALU_DEP_4)
	v_add_f32_e32 v77, v77, v84
	v_sub_f32_e32 v84, v141, v85
	v_mul_f32_e32 v156, 0xbe8c1d8e, v60
	v_add_f32_e32 v86, v98, v86
	v_fma_f32 v157, 0xbf1a4643, v68, -v117
	v_dual_mul_f32 v162, 0x3ee437d1, v55 :: v_dual_add_f32 v77, v84, v77
	v_sub_f32_e32 v84, v137, v90
	v_add_f32_e32 v90, v120, v164
	s_delay_alu instid0(VALU_DEP_4) | instskip(SKIP_3) | instid1(VALU_DEP_4)
	v_dual_mul_f32 v142, 0x3f3d2fb0, v60 :: v_dual_add_f32 v109, v157, v109
	v_add_f32_e32 v23, v75, v156
	v_mul_f32_e32 v157, 0xbf59a7d5, v70
	v_add_f32_e32 v77, v84, v77
	v_dual_add_f32 v123, v123, v142 :: v_dual_sub_f32 v84, v105, v97
	v_dual_add_f32 v20, v30, v21 :: v_dual_sub_f32 v21, v145, v74
	v_fma_f32 v19, 0xbf7ba420, v53, -v113
	s_delay_alu instid0(VALU_DEP_3) | instskip(NEXT) | instid1(VALU_DEP_3)
	v_dual_add_f32 v96, v123, v96 :: v_dual_mul_f32 v123, 0xbf1a4643, v67
	v_dual_add_f32 v77, v84, v77 :: v_dual_add_f32 v20, v21, v20
	v_add_f32_e32 v4, v99, v4
	s_delay_alu instid0(VALU_DEP_3) | instskip(NEXT) | instid1(VALU_DEP_4)
	v_dual_add_f32 v96, v129, v96 :: v_dual_mul_f32 v129, 0xbe8c1d8e, v67
	v_add_f32_e32 v22, v83, v123
	v_dual_fmac_f32 v112, 0x3f6eb680, v56 :: v_dual_add_f32 v13, v13, v17
	s_delay_alu instid0(VALU_DEP_3) | instskip(SKIP_1) | instid1(VALU_DEP_3)
	v_dual_add_f32 v96, v127, v96 :: v_dual_add_f32 v85, v94, v86
	v_dual_sub_f32 v86, v161, v101 :: v_dual_fmac_f32 v125, 0xbf59a7d5, v66
	v_add_f32_e32 v13, v15, v13
	v_add_f32_e32 v76, v87, v76
	v_fma_f32 v15, 0x3f6eb680, v57, -v126
	s_delay_alu instid0(VALU_DEP_4) | instskip(NEXT) | instid1(VALU_DEP_4)
	v_dual_add_f32 v85, v86, v85 :: v_dual_sub_f32 v86, v133, v108
	v_add_f32_e32 v9, v9, v13
	v_fma_f32 v13, 0x3ee437d1, v60, -v131
	v_fma_f32 v17, 0xbe8c1d8e, v55, -v121
	s_delay_alu instid0(VALU_DEP_4) | instskip(SKIP_4) | instid1(VALU_DEP_4)
	v_dual_fmac_f32 v104, 0xbe8c1d8e, v54 :: v_dual_add_f32 v85, v86, v85
	v_add_f32_e32 v87, v100, v148
	v_dual_sub_f32 v86, v140, v118 :: v_dual_add_f32 v9, v11, v9
	v_fmac_f32_e32 v102, 0xbf7ba420, v52
	v_mul_f32_e32 v127, 0x3ee437d1, v68
	v_dual_add_f32 v76, v87, v76 :: v_dual_add_f32 v87, v106, v129
	s_delay_alu instid0(VALU_DEP_4) | instskip(NEXT) | instid1(VALU_DEP_4)
	v_dual_add_f32 v85, v86, v85 :: v_dual_sub_f32 v86, v149, v122
	v_add_f32_e32 v4, v102, v4
	v_fmac_f32_e32 v117, 0xbf1a4643, v68
	s_delay_alu instid0(VALU_DEP_4) | instskip(NEXT) | instid1(VALU_DEP_3)
	v_dual_add_f32 v76, v87, v76 :: v_dual_add_f32 v87, v114, v91
	v_dual_sub_f32 v91, v127, v111 :: v_dual_add_f32 v4, v104, v4
	s_delay_alu instid0(VALU_DEP_2) | instskip(SKIP_1) | instid1(VALU_DEP_1)
	v_dual_add_f32 v87, v87, v76 :: v_dual_add_f32 v76, v86, v85
	v_dual_add_f32 v85, v92, v5 :: v_dual_mul_f32 v144, 0xbe8c1d8e, v66
	v_dual_add_f32 v4, v112, v4 :: v_dual_add_f32 v29, v62, v85
	v_add_f32_e32 v62, v65, v162
	s_delay_alu instid0(VALU_DEP_3) | instskip(NEXT) | instid1(VALU_DEP_3)
	v_sub_f32_e32 v84, v144, v103
	v_add_f32_e32 v4, v119, v4
	s_delay_alu instid0(VALU_DEP_3) | instskip(NEXT) | instid1(VALU_DEP_3)
	v_dual_add_f32 v28, v62, v29 :: v_dual_add_f32 v29, v71, v150
	v_add_f32_e32 v84, v84, v77
	s_delay_alu instid0(VALU_DEP_2) | instskip(NEXT) | instid1(VALU_DEP_1)
	v_add_f32_e32 v28, v29, v28
	v_dual_mul_f32 v154, 0xbf59a7d5, v78 :: v_dual_add_f32 v23, v23, v28
	s_delay_alu instid0(VALU_DEP_1) | instskip(SKIP_1) | instid1(VALU_DEP_3)
	v_add_f32_e32 v130, v130, v154
	v_mul_f32_e32 v154, 0xbf7ba420, v78
	v_dual_add_f32 v22, v22, v23 :: v_dual_add_f32 v23, v89, v157
	s_delay_alu instid0(VALU_DEP_3) | instskip(NEXT) | instid1(VALU_DEP_1)
	v_dual_mul_f32 v142, 0xbf1a4643, v66 :: v_dual_add_f32 v77, v130, v96
	v_dual_add_f32 v22, v23, v22 :: v_dual_sub_f32 v21, v142, v79
	s_delay_alu instid0(VALU_DEP_1) | instskip(SKIP_2) | instid1(VALU_DEP_2)
	v_add_f32_e32 v20, v21, v20
	v_dual_sub_f32 v21, v163, v88 :: v_dual_mul_f32 v98, 0x3f6eb680, v73
	v_dual_add_f32 v23, v95, v154 :: v_dual_mul_f32 v124, 0x3f2c7751, v124
	v_dual_add_f32 v20, v21, v20 :: v_dual_sub_f32 v21, v160, v93
	s_delay_alu instid0(VALU_DEP_2)
	v_add_f32_e32 v7, v23, v22
	v_add_f32_e32 v22, v26, v6
	v_fma_f32 v23, 0x3dbcf732, v51, -v107
	v_sub_f32_e32 v86, v98, v110
	v_fma_f32 v138, 0x3f3d2fb0, v73, -v124
	v_add_f32_e32 v6, v21, v20
	s_delay_alu instid0(VALU_DEP_4) | instskip(SKIP_1) | instid1(VALU_DEP_4)
	v_dual_add_f32 v16, v16, v22 :: v_dual_add_f32 v5, v23, v5
	v_fmac_f32_e32 v124, 0x3f3d2fb0, v73
	v_add_f32_e32 v71, v138, v109
	s_delay_alu instid0(VALU_DEP_3) | instskip(NEXT) | instid1(VALU_DEP_1)
	v_dual_add_f32 v16, v18, v16 :: v_dual_add_f32 v5, v19, v5
	v_dual_add_f32 v12, v12, v16 :: v_dual_add_f32 v5, v17, v5
	s_delay_alu instid0(VALU_DEP_1) | instskip(NEXT) | instid1(VALU_DEP_1)
	v_dual_add_f32 v12, v14, v12 :: v_dual_add_f32 v5, v15, v5
	v_dual_add_f32 v8, v8, v12 :: v_dual_add_f32 v11, v13, v5
	v_fma_f32 v12, 0xbf59a7d5, v67, -v134
	s_delay_alu instid0(VALU_DEP_2) | instskip(SKIP_1) | instid1(VALU_DEP_3)
	v_dual_add_f32 v5, v37, v9 :: v_dual_add_f32 v8, v10, v8
	v_mul_lo_u16 v10, v116, 17
	v_add_f32_e32 v9, v12, v11
	v_fma_f32 v11, 0xbf1a4643, v70, -v132
	v_add_f32_e32 v12, v125, v4
	v_add_f32_e32 v4, v36, v8
	v_and_b32_e32 v8, 0xffff, v10
	v_fma_f32 v10, 0x3f3d2fb0, v78, -v128
	v_add_f32_e32 v9, v11, v9
	v_add_f32_e32 v11, v117, v12
	;; [unrolled: 1-line block ×3, first 2 shown]
	v_dual_add_f32 v63, v90, v87 :: v_dual_lshlrev_b32 v12, 3, v8
	s_delay_alu instid0(VALU_DEP_3) | instskip(NEXT) | instid1(VALU_DEP_3)
	v_dual_add_f32 v9, v10, v9 :: v_dual_add_f32 v8, v124, v11
	v_add_f32_e32 v62, v86, v84
	ds_store_2addr_b64 v12, v[4:5], v[6:7] offset1:1
	ds_store_2addr_b64 v12, v[62:63], v[76:77] offset0:2 offset1:3
	ds_store_2addr_b64 v12, v[71:72], v[135:136] offset0:4 offset1:5
	;; [unrolled: 1-line block ×7, first 2 shown]
	ds_store_b64 v12, v[81:82] offset:128
.LBB0_7:
	s_or_b32 exec_lo, exec_lo, s4
	v_and_b32_e32 v4, 0xff, v116
	v_add_nc_u16 v32, v116, 0x77
	s_load_b128 s[4:7], s[2:3], 0x0
	s_waitcnt lgkmcnt(0)
	s_barrier
	v_mul_lo_u16 v8, 0xf1, v4
	v_add_co_u32 v4, null, 0xee, v116
	buffer_gl0_inv
	v_add_co_u32 v6, null, 0x1dc, v116
	v_lshrrev_b16 v25, 12, v8
	v_and_b32_e32 v12, 0xffff, v4
	v_add_co_u32 v7, null, 0x253, v116
	v_add_co_u32 v11, null, 0x2ca, v116
	s_delay_alu instid0(VALU_DEP_4) | instskip(NEXT) | instid1(VALU_DEP_4)
	v_mul_lo_u16 v9, v25, 17
	v_mul_u32_u24_e32 v12, 0xf0f1, v12
	v_and_b32_e32 v14, 0xffff, v6
	s_delay_alu instid0(VALU_DEP_4)
	v_and_b32_e32 v15, 0xffff, v11
	v_lshrrev_b16 v45, 13, v8
	v_sub_nc_u16 v9, v116, v9
	v_lshrrev_b32_e32 v35, 20, v12
	v_mul_lo_u16 v30, v25, 34
	v_mul_u32_u24_e32 v15, 0xf0f1, v15
	v_mul_lo_u16 v29, v45, 34
	v_and_b32_e32 v33, 0xff, v9
	v_and_b32_e32 v9, 0xffff, v7
	v_mad_u64_u32 v[56:57], null, v116, 48, s[0:1]
	v_lshrrev_b32_e32 v40, 20, v15
	s_delay_alu instid0(VALU_DEP_4) | instskip(NEXT) | instid1(VALU_DEP_4)
	v_lshlrev_b32_e32 v12, 3, v33
	v_mul_u32_u24_e32 v9, 0xf0f1, v9
	v_sub_nc_u16 v48, v116, v29
	v_lshlrev_b32_e32 v118, 3, v116
	global_load_b64 v[89:90], v12, s[0:1]
	v_and_b32_e32 v5, 0xff, v32
	v_lshrrev_b32_e32 v38, 20, v9
	s_delay_alu instid0(VALU_DEP_2) | instskip(SKIP_1) | instid1(VALU_DEP_2)
	v_mul_lo_u16 v24, 0xf1, v5
	v_add_co_u32 v5, null, 0x165, v116
	v_lshrrev_b16 v28, 12, v24
	s_delay_alu instid0(VALU_DEP_2) | instskip(SKIP_1) | instid1(VALU_DEP_3)
	v_and_b32_e32 v13, 0xffff, v5
	v_lshrrev_b16 v46, 13, v24
	v_mul_lo_u16 v10, v28, 17
	v_and_b32_e32 v47, 0xffff, v28
	s_delay_alu instid0(VALU_DEP_3) | instskip(NEXT) | instid1(VALU_DEP_3)
	v_mul_lo_u16 v49, v46, 34
	v_sub_nc_u16 v10, v32, v10
	s_delay_alu instid0(VALU_DEP_3) | instskip(NEXT) | instid1(VALU_DEP_2)
	v_mul_u32_u24_e32 v47, 34, v47
	v_and_b32_e32 v34, 0xff, v10
	v_mul_u32_u24_e32 v10, 0xf0f1, v13
	s_delay_alu instid0(VALU_DEP_2) | instskip(NEXT) | instid1(VALU_DEP_2)
	v_lshlrev_b32_e32 v13, 3, v34
	v_lshrrev_b32_e32 v36, 20, v10
	v_mul_u32_u24_e32 v10, 0xf0f1, v14
	v_mul_lo_u16 v14, v35, 17
	v_add_lshl_u32 v123, v47, v34, 3
	global_load_b64 v[93:94], v13, s[0:1]
	v_mul_lo_u16 v16, v36, 17
	v_lshrrev_b32_e32 v37, 20, v10
	v_sub_nc_u16 v39, v4, v14
	v_mul_lo_u16 v10, v40, 17
	s_delay_alu instid0(VALU_DEP_4) | instskip(NEXT) | instid1(VALU_DEP_4)
	v_sub_nc_u16 v41, v5, v16
	v_mul_lo_u16 v4, v37, 17
	v_mul_lo_u16 v5, v38, 17
	v_and_b32_e32 v9, 0xffff, v39
	v_sub_nc_u16 v44, v11, v10
	v_and_b32_e32 v14, 0xffff, v41
	v_sub_nc_u16 v42, v6, v4
	v_sub_nc_u16 v43, v7, v5
	v_lshlrev_b32_e32 v4, 3, v9
	v_and_b32_e32 v9, 0xffff, v44
	v_lshlrev_b32_e32 v6, 3, v14
	v_and_b32_e32 v5, 0xffff, v42
	v_and_b32_e32 v7, 0xffff, v43
	global_load_b64 v[95:96], v4, s[0:1]
	v_mad_u16 v35, v35, 34, v39
	global_load_b64 v[91:92], v6, s[0:1]
	v_lshlrev_b32_e32 v5, 3, v5
	v_lshlrev_b32_e32 v4, 3, v7
	;; [unrolled: 1-line block ×3, first 2 shown]
	s_clause 0x2
	global_load_b64 v[87:88], v5, s[0:1]
	global_load_b64 v[85:86], v4, s[0:1]
	;; [unrolled: 1-line block ×3, first 2 shown]
	v_and_b32_e32 v4, 0xffff, v116
	v_mad_u16 v36, v36, 34, v41
	v_mad_u16 v37, v37, 34, v42
	;; [unrolled: 1-line block ×4, first 2 shown]
	v_lshlrev_b32_e32 v117, 3, v4
	s_delay_alu instid0(VALU_DEP_1)
	v_add_nc_u32_e32 v97, 0x1400, v117
	v_add_nc_u32_e32 v98, 0x1c00, v117
	;; [unrolled: 1-line block ×4, first 2 shown]
	ds_load_2addr_b64 v[4:7], v117 offset1:119
	ds_load_2addr_b64 v[8:11], v97 offset0:74 offset1:193
	ds_load_2addr_b64 v[12:15], v98 offset0:56 offset1:175
	;; [unrolled: 1-line block ×4, first 2 shown]
	s_waitcnt vmcnt(2) lgkmcnt(0)
	v_mul_f32_e32 v41, v22, v88
	v_mul_f32_e32 v40, v23, v88
	s_delay_alu instid0(VALU_DEP_2)
	v_fmac_f32_e32 v41, v23, v87
	v_and_b32_e32 v34, 0xffff, v35
	v_and_b32_e32 v35, 0xffff, v36
	;; [unrolled: 1-line block ×4, first 2 shown]
	v_fma_f32 v22, v22, v87, -v40
	v_lshlrev_b32_e32 v125, 3, v34
	v_dual_mul_f32 v35, v10, v90 :: v_dual_lshlrev_b32 v124, 3, v35
	v_mul_f32_e32 v34, v11, v90
	v_dual_mul_f32 v37, v14, v96 :: v_dual_lshlrev_b32 v120, 3, v37
	s_delay_alu instid0(VALU_DEP_3) | instskip(SKIP_1) | instid1(VALU_DEP_4)
	v_dual_fmac_f32 v35, v11, v89 :: v_dual_and_b32 v38, 0xffff, v39
	v_dual_mul_f32 v11, v13, v94 :: v_dual_add_nc_u32 v102, 0xc00, v117
	v_fma_f32 v10, v10, v89, -v34
	s_delay_alu instid0(VALU_DEP_4) | instskip(SKIP_1) | instid1(VALU_DEP_4)
	v_dual_mul_f32 v34, v12, v94 :: v_dual_fmac_f32 v37, v15, v95
	v_and_b32_e32 v50, 0xfe, v30
	v_fma_f32 v12, v12, v93, -v11
	v_sub_f32_e32 v11, v5, v35
	ds_load_2addr_b64 v[24:27], v102 offset0:92 offset1:211
	v_mul_f32_e32 v39, v20, v92
	v_dual_mul_f32 v38, v21, v92 :: v_dual_lshlrev_b32 v119, 3, v38
	v_fmac_f32_e32 v34, v13, v93
	s_delay_alu instid0(VALU_DEP_3) | instskip(SKIP_1) | instid1(VALU_DEP_4)
	v_dual_fmac_f32 v39, v21, v91 :: v_dual_and_b32 v52, 0xff, v48
	v_sub_f32_e32 v10, v4, v10
	v_fma_f32 v20, v20, v91, -v38
	s_delay_alu instid0(VALU_DEP_4) | instskip(NEXT) | instid1(VALU_DEP_4)
	v_dual_sub_f32 v13, v7, v34 :: v_dual_sub_f32 v12, v6, v12
	v_sub_f32_e32 v21, v19, v39
	v_sub_nc_u16 v48, v32, v49
	s_delay_alu instid0(VALU_DEP_4)
	v_sub_f32_e32 v20, v18, v20
	v_fma_f32 v4, v4, 2.0, -v10
	v_fma_f32 v5, v5, 2.0, -v11
	;; [unrolled: 1-line block ×6, first 2 shown]
	s_waitcnt lgkmcnt(0)
	v_sub_f32_e32 v22, v24, v22
	v_add_nc_u32_e32 v100, 0x2c00, v117
	v_sub_f32_e32 v23, v25, v41
	s_delay_alu instid0(VALU_DEP_3)
	v_fma_f32 v24, v24, 2.0, -v22
	ds_load_2addr_b64 v[28:31], v100 offset0:20 offset1:139
	v_fma_f32 v25, v25, 2.0, -v23
	s_waitcnt vmcnt(0) lgkmcnt(0)
	s_barrier
	buffer_gl0_inv
	v_mul_f32_e32 v43, v28, v86
	v_mul_f32_e32 v42, v29, v86
	;; [unrolled: 1-line block ×4, first 2 shown]
	s_delay_alu instid0(VALU_DEP_4) | instskip(SKIP_3) | instid1(VALU_DEP_4)
	v_dual_fmac_f32 v43, v29, v85 :: v_dual_lshlrev_b32 v122, 3, v36
	v_mul_f32_e32 v36, v15, v96
	v_fma_f32 v28, v28, v85, -v42
	v_fma_f32 v30, v30, v83, -v44
	v_sub_f32_e32 v29, v27, v43
	v_fmac_f32_e32 v47, v31, v83
	v_fma_f32 v14, v14, v95, -v36
	v_sub_f32_e32 v15, v17, v37
	v_add_lshl_u32 v121, v50, v33, 3
	v_mad_u64_u32 v[32:33], null, v52, 48, s[0:1]
	s_delay_alu instid0(VALU_DEP_4) | instskip(SKIP_3) | instid1(VALU_DEP_4)
	v_sub_f32_e32 v14, v16, v14
	v_sub_f32_e32 v28, v26, v28
	v_dual_sub_f32 v30, v8, v30 :: v_dual_sub_f32 v31, v9, v47
	v_fma_f32 v17, v17, 2.0, -v15
	v_fma_f32 v16, v16, 2.0, -v14
	s_delay_alu instid0(VALU_DEP_4)
	v_fma_f32 v26, v26, 2.0, -v28
	v_fma_f32 v27, v27, 2.0, -v29
	v_fma_f32 v8, v8, 2.0, -v30
	v_fma_f32 v9, v9, 2.0, -v31
	ds_store_2addr_b64 v121, v[4:5], v[10:11] offset1:17
	ds_store_2addr_b64 v123, v[6:7], v[12:13] offset1:17
	;; [unrolled: 1-line block ×7, first 2 shown]
	s_waitcnt lgkmcnt(0)
	s_barrier
	buffer_gl0_inv
	s_clause 0x1
	global_load_b128 v[24:27], v[32:33], off offset:136
	global_load_b128 v[20:23], v[32:33], off offset:152
	v_and_b32_e32 v53, 0xff, v48
	s_delay_alu instid0(VALU_DEP_1)
	v_mad_u64_u32 v[4:5], null, v53, 48, s[0:1]
	s_clause 0x3
	global_load_b128 v[16:19], v[32:33], off offset:168
	global_load_b128 v[12:15], v[4:5], off offset:136
	;; [unrolled: 1-line block ×4, first 2 shown]
	ds_load_2addr_b64 v[28:31], v101 offset0:110 offset1:229
	ds_load_2addr_b64 v[32:35], v102 offset0:92 offset1:211
	ds_load_2addr_b64 v[36:39], v97 offset0:74 offset1:193
	ds_load_2addr_b64 v[40:43], v98 offset0:56 offset1:175
	v_and_b32_e32 v44, 0xffff, v45
	s_waitcnt vmcnt(5) lgkmcnt(2)
	v_dual_mul_f32 v61, v32, v27 :: v_dual_and_b32 v48, 0xffff, v46
	s_waitcnt vmcnt(4) lgkmcnt(0)
	v_mul_f32_e32 v65, v40, v23
	v_mul_u32_u24_e32 v54, 0xee, v44
	ds_load_2addr_b64 v[44:47], v99 offset0:38 offset1:157
	v_mul_u32_u24_e32 v55, 0xee, v48
	ds_load_2addr_b64 v[48:51], v100 offset0:20 offset1:139
	v_mul_f32_e32 v58, v29, v25
	v_dual_mul_f32 v59, v28, v25 :: v_dual_mul_f32 v60, v33, v27
	v_mul_f32_e32 v62, v37, v21
	v_dual_mul_f32 v63, v36, v21 :: v_dual_mul_f32 v64, v41, v23
	s_waitcnt vmcnt(1)
	v_dual_mul_f32 v71, v30, v13 :: v_dual_mul_f32 v76, v43, v11
	v_dual_mul_f32 v73, v34, v15 :: v_dual_mul_f32 v74, v39, v9
	v_fma_f32 v28, v28, v24, -v58
	v_fmac_f32_e32 v59, v29, v24
	v_fma_f32 v29, v32, v26, -v60
	v_fma_f32 v32, v36, v20, -v62
	v_dual_fmac_f32 v63, v37, v20 :: v_dual_mul_f32 v70, v31, v13
	v_mul_f32_e32 v72, v35, v15
	s_waitcnt lgkmcnt(1)
	v_mul_f32_e32 v66, v45, v17
	s_waitcnt lgkmcnt(0)
	v_dual_mul_f32 v67, v44, v17 :: v_dual_mul_f32 v68, v49, v19
	s_waitcnt vmcnt(0)
	v_mul_f32_e32 v104, v50, v7
	v_mul_f32_e32 v69, v48, v19
	v_fma_f32 v36, v44, v16, -v66
	v_mul_f32_e32 v75, v38, v9
	v_fma_f32 v37, v48, v18, -v68
	v_fmac_f32_e32 v104, v51, v6
	v_fmac_f32_e32 v61, v33, v26
	v_fma_f32 v33, v40, v22, -v64
	v_dual_mul_f32 v77, v42, v11 :: v_dual_mul_f32 v78, v47, v5
	v_mul_f32_e32 v79, v46, v5
	v_dual_mul_f32 v103, v51, v7 :: v_dual_add_f32 v40, v28, v37
	v_fmac_f32_e32 v73, v35, v14
	v_fma_f32 v35, v42, v10, -v76
	v_add_f32_e32 v42, v29, v36
	v_add_f32_e32 v44, v32, v33
	v_sub_f32_e32 v32, v33, v32
	v_add_lshl_u32 v127, v54, v52, 3
	v_add_lshl_u32 v126, v55, v53, 3
	ds_load_2addr_b64 v[52:55], v117 offset1:119
	v_fma_f32 v30, v30, v12, -v70
	v_dual_fmac_f32 v77, v43, v10 :: v_dual_add_f32 v58, v42, v40
	v_dual_fmac_f32 v79, v47, v4 :: v_dual_sub_f32 v28, v28, v37
	v_sub_f32_e32 v60, v42, v40
	v_dual_sub_f32 v42, v44, v42 :: v_dual_fmac_f32 v75, v39, v8
	v_fma_f32 v39, v50, v6, -v103
	v_fmac_f32_e32 v65, v41, v22
	v_fmac_f32_e32 v67, v45, v16
	;; [unrolled: 1-line block ×3, first 2 shown]
	v_fma_f32 v31, v34, v14, -v72
	v_fma_f32 v34, v38, v8, -v74
	v_fmac_f32_e32 v69, v49, v18
	v_fma_f32 v38, v46, v4, -v78
	v_dual_sub_f32 v29, v29, v36 :: v_dual_add_f32 v46, v30, v39
	v_sub_f32_e32 v30, v30, v39
	s_delay_alu instid0(VALU_DEP_3)
	v_dual_add_f32 v43, v61, v67 :: v_dual_add_f32 v48, v31, v38
	v_dual_add_f32 v50, v34, v35 :: v_dual_add_f32 v41, v59, v69
	v_sub_f32_e32 v40, v40, v44
	v_sub_f32_e32 v34, v35, v34
	v_dual_add_f32 v45, v63, v65 :: v_dual_sub_f32 v66, v29, v28
	v_dual_sub_f32 v37, v59, v69 :: v_dual_sub_f32 v36, v61, v67
	v_dual_sub_f32 v33, v65, v63 :: v_dual_add_f32 v62, v32, v29
	v_dual_add_f32 v47, v71, v104 :: v_dual_sub_f32 v64, v32, v29
	v_dual_add_f32 v49, v73, v79 :: v_dual_sub_f32 v68, v48, v46
	v_dual_sub_f32 v31, v31, v38 :: v_dual_sub_f32 v38, v73, v79
	v_add_f32_e32 v51, v75, v77
	v_sub_f32_e32 v35, v77, v75
	v_dual_sub_f32 v61, v43, v41 :: v_dual_sub_f32 v32, v28, v32
	v_sub_f32_e32 v39, v71, v104
	v_dual_add_f32 v29, v48, v46 :: v_dual_sub_f32 v48, v50, v48
	v_dual_add_f32 v59, v43, v41 :: v_dual_add_f32 v70, v34, v31
	v_dual_sub_f32 v41, v41, v45 :: v_dual_sub_f32 v72, v34, v31
	v_dual_sub_f32 v43, v45, v43 :: v_dual_sub_f32 v74, v31, v30
	v_add_f32_e32 v63, v33, v36
	v_dual_sub_f32 v65, v33, v36 :: v_dual_add_f32 v44, v44, v58
	v_dual_sub_f32 v36, v36, v37 :: v_dual_add_f32 v67, v49, v47
	v_dual_sub_f32 v69, v49, v47 :: v_dual_sub_f32 v46, v46, v50
	v_sub_f32_e32 v34, v30, v34
	v_add_f32_e32 v71, v35, v38
	v_dual_sub_f32 v73, v35, v38 :: v_dual_mul_f32 v72, 0xbf08b237, v72
	v_sub_f32_e32 v38, v38, v39
	v_add_f32_e32 v45, v45, v59
	v_dual_mul_f32 v31, 0x3f4a47b2, v40 :: v_dual_mul_f32 v40, 0x3f4a47b2, v41
	v_dual_sub_f32 v47, v47, v51 :: v_dual_add_f32 v50, v50, v29
	v_dual_sub_f32 v33, v37, v33 :: v_dual_add_f32 v58, v62, v28
	v_dual_sub_f32 v49, v51, v49 :: v_dual_mul_f32 v46, 0x3f4a47b2, v46
	v_dual_sub_f32 v35, v39, v35 :: v_dual_mul_f32 v76, 0x3f5ff5aa, v38
	v_mul_f32_e32 v41, 0x3d64c772, v42
	v_mul_f32_e32 v62, 0xbf08b237, v64
	v_dual_mul_f32 v64, 0x3f5ff5aa, v66 :: v_dual_add_f32 v51, v51, v67
	v_mul_f32_e32 v73, 0xbf08b237, v73
	s_waitcnt lgkmcnt(0)
	v_dual_add_f32 v67, v70, v30 :: v_dual_add_f32 v28, v52, v44
	v_dual_add_f32 v29, v53, v45 :: v_dual_add_f32 v30, v54, v50
	v_dual_add_f32 v37, v63, v37 :: v_dual_fmamk_f32 v42, v42, 0x3d64c772, v31
	v_mul_f32_e32 v59, 0x3d64c772, v43
	v_fma_f32 v53, 0xbf3bfb3b, v60, -v31
	v_mul_f32_e32 v63, 0xbf08b237, v65
	v_fmamk_f32 v43, v43, 0x3d64c772, v40
	v_fma_f32 v41, 0x3f3bfb3b, v60, -v41
	v_fma_f32 v52, 0x3f3bfb3b, v61, -v59
	;; [unrolled: 1-line block ×3, first 2 shown]
	v_dual_fmamk_f32 v59, v32, 0x3eae86e6, v62 :: v_dual_fmamk_f32 v60, v33, 0x3eae86e6, v63
	v_fma_f32 v61, 0x3f5ff5aa, v66, -v62
	v_fma_f32 v62, 0x3f5ff5aa, v36, -v63
	;; [unrolled: 1-line block ×3, first 2 shown]
	v_fmamk_f32 v32, v48, 0x3d64c772, v46
	v_mul_f32_e32 v65, 0x3f5ff5aa, v36
	v_dual_mul_f32 v70, 0x3d64c772, v48 :: v_dual_add_f32 v31, v55, v51
	v_fmac_f32_e32 v60, 0x3ee1c552, v37
	v_fma_f32 v46, 0xbf3bfb3b, v68, -v46
	s_delay_alu instid0(VALU_DEP_4) | instskip(SKIP_2) | instid1(VALU_DEP_3)
	v_fma_f32 v64, 0xbeae86e6, v33, -v65
	v_dual_fmac_f32 v59, 0x3ee1c552, v58 :: v_dual_fmac_f32 v62, 0x3ee1c552, v37
	v_fmac_f32_e32 v61, 0x3ee1c552, v58
	v_dual_add_f32 v39, v71, v39 :: v_dual_fmac_f32 v64, 0x3ee1c552, v37
	v_fmamk_f32 v37, v50, 0xbf955555, v30
	v_mul_f32_e32 v75, 0x3f5ff5aa, v74
	v_fma_f32 v36, 0x3f3bfb3b, v68, -v70
	v_fmamk_f32 v55, v34, 0x3eae86e6, v72
	v_mul_f32_e32 v47, 0x3f4a47b2, v47
	v_fmamk_f32 v54, v35, 0x3eae86e6, v73
	v_fma_f32 v68, 0xbeae86e6, v34, -v75
	v_add_f32_e32 v50, v36, v37
	v_fmamk_f32 v34, v44, 0xbf955555, v28
	v_fma_f32 v66, 0x3f5ff5aa, v38, -v73
	v_dual_fmac_f32 v63, 0x3ee1c552, v58 :: v_dual_fmac_f32 v54, 0x3ee1c552, v39
	v_fmamk_f32 v38, v51, 0xbf955555, v31
	s_delay_alu instid0(VALU_DEP_4)
	v_dual_add_f32 v42, v42, v34 :: v_dual_mul_f32 v71, 0x3d64c772, v49
	v_add_f32_e32 v44, v53, v34
	v_fmamk_f32 v33, v49, 0x3d64c772, v47
	v_fma_f32 v47, 0xbf3bfb3b, v69, -v47
	v_add_f32_e32 v58, v32, v37
	v_add_f32_e32 v32, v60, v42
	v_fma_f32 v48, 0x3f3bfb3b, v69, -v71
	v_fma_f32 v69, 0xbeae86e6, v35, -v76
	v_dual_fmamk_f32 v35, v45, 0xbf955555, v29 :: v_dual_sub_f32 v42, v42, v60
	v_fma_f32 v65, 0x3f5ff5aa, v74, -v72
	v_fmac_f32_e32 v66, 0x3ee1c552, v39
	s_delay_alu instid0(VALU_DEP_4)
	v_fmac_f32_e32 v69, 0x3ee1c552, v39
	v_add_f32_e32 v39, v41, v34
	v_dual_add_f32 v41, v52, v35 :: v_dual_add_f32 v52, v46, v37
	v_fmac_f32_e32 v65, 0x3ee1c552, v67
	v_add_f32_e32 v45, v40, v35
	v_add_f32_e32 v51, v48, v38
	v_dual_add_f32 v53, v47, v38 :: v_dual_sub_f32 v40, v44, v64
	v_fmac_f32_e32 v68, 0x3ee1c552, v67
	v_sub_f32_e32 v48, v50, v66
	v_add_f32_e32 v50, v66, v50
	v_dual_add_f32 v46, v69, v52 :: v_dual_fmac_f32 v55, 0x3ee1c552, v67
	v_dual_add_f32 v67, v33, v38 :: v_dual_add_f32 v38, v62, v39
	v_dual_add_f32 v43, v43, v35 :: v_dual_add_f32 v34, v64, v44
	v_add_f32_e32 v44, v54, v58
	v_dual_sub_f32 v54, v58, v54 :: v_dual_sub_f32 v35, v45, v63
	s_delay_alu instid0(VALU_DEP_3)
	v_sub_f32_e32 v33, v43, v59
	v_dual_sub_f32 v36, v39, v62 :: v_dual_add_f32 v37, v61, v41
	v_sub_f32_e32 v39, v41, v61
	v_add_f32_e32 v41, v63, v45
	v_add_f32_e32 v43, v59, v43
	v_sub_f32_e32 v45, v67, v55
	s_barrier
	buffer_gl0_inv
	v_sub_f32_e32 v47, v53, v68
	v_add_f32_e32 v49, v65, v51
	v_sub_f32_e32 v51, v51, v65
	v_sub_f32_e32 v52, v52, v69
	v_add_f32_e32 v53, v68, v53
	v_add_f32_e32 v55, v55, v67
	ds_store_2addr_b64 v127, v[28:29], v[32:33] offset1:34
	ds_store_2addr_b64 v127, v[34:35], v[36:37] offset0:68 offset1:102
	ds_store_2addr_b64 v127, v[38:39], v[40:41] offset0:136 offset1:170
	ds_store_b64 v127, v[42:43] offset:1632
	ds_store_2addr_b64 v126, v[30:31], v[44:45] offset1:34
	ds_store_2addr_b64 v126, v[46:47], v[48:49] offset0:68 offset1:102
	ds_store_2addr_b64 v126, v[50:51], v[52:53] offset0:136 offset1:170
	ds_store_b64 v126, v[54:55] offset:1632
	v_add_co_u32 v28, s0, 0x1000, v56
	s_delay_alu instid0(VALU_DEP_1)
	v_add_co_ci_u32_e64 v29, s0, 0, v57, s0
	v_add_co_u32 v30, s0, 0x1d38, v56
	s_waitcnt lgkmcnt(0)
	s_barrier
	buffer_gl0_inv
	s_clause 0x2
	global_load_b128 v[44:47], v[56:57], off offset:1768
	global_load_b128 v[36:39], v[56:57], off offset:1784
	;; [unrolled: 1-line block ×3, first 2 shown]
	v_add_co_ci_u32_e64 v31, s0, 0, v57, s0
	s_clause 0x2
	global_load_b128 v[40:43], v[28:29], off offset:3384
	global_load_b128 v[32:35], v[30:31], off offset:16
	;; [unrolled: 1-line block ×3, first 2 shown]
	ds_load_2addr_b64 v[52:55], v101 offset0:110 offset1:229
	ds_load_2addr_b64 v[56:59], v102 offset0:92 offset1:211
	;; [unrolled: 1-line block ×6, first 2 shown]
	ds_load_2addr_b64 v[76:79], v117 offset1:119
	s_waitcnt vmcnt(5) lgkmcnt(5)
	v_dual_mul_f32 v103, v53, v45 :: v_dual_mul_f32 v106, v56, v47
	s_waitcnt vmcnt(4) lgkmcnt(4)
	v_mul_f32_e32 v108, v60, v37
	s_waitcnt vmcnt(3) lgkmcnt(1)
	v_dual_mul_f32 v112, v68, v49 :: v_dual_mul_f32 v113, v73, v51
	v_mul_f32_e32 v104, v52, v45
	s_waitcnt vmcnt(0)
	v_dual_mul_f32 v129, v54, v41 :: v_dual_mul_f32 v138, v75, v31
	s_delay_alu instid0(VALU_DEP_3)
	v_fmac_f32_e32 v112, v69, v48
	v_fma_f32 v52, v52, v44, -v103
	v_fmac_f32_e32 v106, v57, v46
	v_mul_f32_e32 v107, v61, v37
	v_fmac_f32_e32 v108, v61, v36
	v_fma_f32 v61, v72, v50, -v113
	v_mul_f32_e32 v105, v57, v47
	v_mul_f32_e32 v109, v65, v39
	v_mul_f32_e32 v110, v64, v39
	v_mul_f32_e32 v128, v55, v41
	v_fmac_f32_e32 v104, v53, v44
	v_mul_f32_e32 v130, v59, v43
	v_fma_f32 v57, v64, v38, -v109
	v_add_f32_e32 v64, v52, v61
	v_sub_f32_e32 v52, v52, v61
	v_fma_f32 v53, v56, v46, -v105
	v_mul_f32_e32 v133, v62, v33
	v_mul_f32_e32 v132, v63, v33
	;; [unrolled: 1-line block ×3, first 2 shown]
	v_fma_f32 v54, v54, v40, -v128
	s_delay_alu instid0(VALU_DEP_4) | instskip(SKIP_2) | instid1(VALU_DEP_3)
	v_dual_mul_f32 v114, v72, v51 :: v_dual_fmac_f32 v133, v63, v32
	v_fma_f32 v63, v74, v30, -v138
	v_mul_f32_e32 v111, v69, v49
	v_dual_mul_f32 v131, v58, v43 :: v_dual_fmac_f32 v114, v73, v50
	v_mul_f32_e32 v134, v67, v35
	v_fma_f32 v56, v60, v36, -v107
	v_dual_mul_f32 v135, v66, v35 :: v_dual_fmac_f32 v110, v65, v38
	v_fmac_f32_e32 v129, v55, v40
	v_fma_f32 v55, v58, v42, -v130
	v_fma_f32 v58, v62, v32, -v132
	;; [unrolled: 1-line block ×3, first 2 shown]
	v_mul_f32_e32 v137, v70, v29
	v_add_f32_e32 v70, v54, v63
	v_fma_f32 v60, v68, v48, -v111
	v_fmac_f32_e32 v131, v59, v42
	v_fma_f32 v59, v66, v34, -v134
	v_add_f32_e32 v68, v56, v57
	v_dual_sub_f32 v56, v57, v56 :: v_dual_fmac_f32 v135, v67, v34
	v_add_f32_e32 v66, v53, v60
	v_add_f32_e32 v67, v106, v112
	v_sub_f32_e32 v53, v53, v60
	v_sub_f32_e32 v60, v106, v112
	;; [unrolled: 1-line block ×3, first 2 shown]
	v_add_f32_e32 v65, v104, v114
	v_add_f32_e32 v69, v108, v110
	;; [unrolled: 1-line block ×3, first 2 shown]
	s_delay_alu instid0(VALU_DEP_4) | instskip(NEXT) | instid1(VALU_DEP_4)
	v_dual_sub_f32 v55, v55, v62 :: v_dual_add_f32 v108, v57, v60
	v_dual_sub_f32 v61, v104, v114 :: v_dual_add_f32 v104, v67, v65
	v_fmac_f32_e32 v137, v71, v28
	v_sub_f32_e32 v110, v57, v60
	v_sub_f32_e32 v54, v54, v63
	s_delay_alu instid0(VALU_DEP_4)
	v_dual_sub_f32 v60, v60, v61 :: v_dual_mul_f32 v139, v74, v31
	v_add_f32_e32 v74, v58, v59
	v_sub_f32_e32 v62, v131, v137
	v_sub_f32_e32 v58, v59, v58
	v_add_f32_e32 v73, v131, v137
	v_fmac_f32_e32 v139, v75, v30
	v_add_f32_e32 v103, v66, v64
	v_dual_sub_f32 v105, v66, v64 :: v_dual_sub_f32 v106, v67, v65
	v_sub_f32_e32 v64, v64, v68
	v_sub_f32_e32 v66, v68, v66
	v_sub_f32_e32 v109, v56, v53
	v_sub_f32_e32 v111, v53, v52
	v_add_f32_e32 v107, v56, v53
	v_dual_sub_f32 v56, v52, v56 :: v_dual_add_f32 v71, v129, v139
	v_add_f32_e32 v53, v72, v70
	v_sub_f32_e32 v113, v72, v70
	v_dual_sub_f32 v70, v70, v74 :: v_dual_sub_f32 v63, v129, v139
	v_dual_sub_f32 v72, v74, v72 :: v_dual_add_f32 v75, v133, v135
	v_dual_sub_f32 v132, v54, v58 :: v_dual_sub_f32 v65, v65, v69
	v_sub_f32_e32 v67, v69, v67
	v_add_f32_e32 v128, v58, v55
	v_dual_sub_f32 v114, v73, v71 :: v_dual_sub_f32 v59, v135, v133
	v_dual_sub_f32 v130, v58, v55 :: v_dual_add_f32 v69, v69, v104
	v_mul_f32_e32 v58, 0x3f4a47b2, v64
	v_mul_f32_e32 v64, 0x3d64c772, v66
	v_add_f32_e32 v68, v68, v103
	v_mul_f32_e32 v70, 0x3f4a47b2, v70
	v_mul_f32_e32 v104, 0xbf08b237, v109
	v_add_f32_e32 v112, v73, v71
	v_sub_f32_e32 v57, v61, v57
	v_sub_f32_e32 v73, v75, v73
	;; [unrolled: 1-line block ×3, first 2 shown]
	v_dual_sub_f32 v133, v63, v59 :: v_dual_fmamk_f32 v66, v66, 0x3d64c772, v58
	v_dual_add_f32 v61, v108, v61 :: v_dual_mul_f32 v108, 0x3f5ff5aa, v111
	v_add_f32_e32 v103, v107, v52
	s_waitcnt lgkmcnt(0)
	v_add_f32_e32 v52, v76, v68
	v_fma_f32 v64, 0x3f3bfb3b, v105, -v64
	v_mul_f32_e32 v107, 0xbf08b237, v110
	v_sub_f32_e32 v55, v55, v54
	v_add_f32_e32 v54, v128, v54
	v_mul_f32_e32 v110, 0x3d64c772, v72
	v_add_f32_e32 v74, v74, v53
	v_dual_mul_f32 v128, 0xbf08b237, v130 :: v_dual_sub_f32 v71, v71, v75
	v_fma_f32 v76, 0xbf3bfb3b, v105, -v58
	v_fmamk_f32 v105, v56, 0x3eae86e6, v104
	v_fma_f32 v104, 0x3f5ff5aa, v111, -v104
	v_add_f32_e32 v58, v78, v74
	v_dual_fmamk_f32 v72, v72, 0x3d64c772, v70 :: v_dual_add_f32 v53, v77, v69
	s_delay_alu instid0(VALU_DEP_3)
	v_dual_add_f32 v129, v59, v62 :: v_dual_fmac_f32 v104, 0x3ee1c552, v103
	v_dual_add_f32 v75, v75, v112 :: v_dual_mul_f32 v112, 0x3d64c772, v73
	v_mul_f32_e32 v71, 0x3f4a47b2, v71
	v_dual_sub_f32 v62, v62, v63 :: v_dual_mul_f32 v59, 0x3f4a47b2, v65
	v_mul_f32_e32 v109, 0x3f5ff5aa, v60
	v_fma_f32 v56, 0xbeae86e6, v56, -v108
	s_delay_alu instid0(VALU_DEP_4) | instskip(SKIP_4) | instid1(VALU_DEP_4)
	v_fmamk_f32 v73, v73, 0x3d64c772, v71
	v_mul_f32_e32 v65, 0x3d64c772, v67
	v_fma_f32 v77, 0xbf3bfb3b, v106, -v59
	v_fma_f32 v78, 0x3f3bfb3b, v113, -v110
	;; [unrolled: 1-line block ×4, first 2 shown]
	v_fmamk_f32 v106, v57, 0x3eae86e6, v107
	v_mul_f32_e32 v130, 0x3f5ff5aa, v55
	v_fma_f32 v57, 0xbeae86e6, v57, -v109
	v_fma_f32 v109, 0x3f5ff5aa, v55, -v128
	v_dual_fmamk_f32 v55, v68, 0xbf955555, v52 :: v_dual_fmamk_f32 v68, v69, 0xbf955555, v53
	v_add_f32_e32 v63, v129, v63
	v_fma_f32 v110, 0xbeae86e6, v132, -v130
	s_delay_alu instid0(VALU_DEP_3)
	v_dual_fmac_f32 v109, 0x3ee1c552, v54 :: v_dual_add_f32 v64, v64, v55
	v_fmamk_f32 v67, v67, 0x3d64c772, v59
	v_fma_f32 v60, 0x3f5ff5aa, v60, -v107
	v_add_f32_e32 v59, v79, v75
	v_dual_fmac_f32 v105, 0x3ee1c552, v103 :: v_dual_fmac_f32 v110, 0x3ee1c552, v54
	v_add_f32_e32 v65, v65, v68
	v_fma_f32 v79, 0x3f3bfb3b, v114, -v112
	s_delay_alu instid0(VALU_DEP_4) | instskip(SKIP_1) | instid1(VALU_DEP_1)
	v_fmamk_f32 v69, v75, 0xbf955555, v59
	v_mul_f32_e32 v129, 0xbf08b237, v131
	v_fmamk_f32 v108, v133, 0x3eae86e6, v129
	v_fmac_f32_e32 v106, 0x3ee1c552, v61
	v_mul_f32_e32 v131, 0x3f5ff5aa, v62
	v_fma_f32 v62, 0x3f5ff5aa, v62, -v129
	v_fmac_f32_e32 v60, 0x3ee1c552, v61
	v_dual_fmac_f32 v56, 0x3ee1c552, v103 :: v_dual_fmac_f32 v57, 0x3ee1c552, v61
	s_delay_alu instid0(VALU_DEP_4)
	v_fma_f32 v111, 0xbeae86e6, v133, -v131
	v_fmac_f32_e32 v108, 0x3ee1c552, v63
	v_fmamk_f32 v61, v74, 0xbf955555, v58
	v_fmac_f32_e32 v62, 0x3ee1c552, v63
	ds_store_2addr_b64 v117, v[52:53], v[58:59] offset1:119
	v_add_f32_e32 v103, v72, v61
	v_add_f32_e32 v75, v78, v61
	v_fmac_f32_e32 v111, 0x3ee1c552, v63
	v_dual_add_f32 v61, v70, v61 :: v_dual_sub_f32 v70, v64, v60
	v_add_f32_e32 v74, v67, v68
	s_delay_alu instid0(VALU_DEP_4) | instskip(NEXT) | instid1(VALU_DEP_3)
	v_dual_sub_f32 v72, v75, v62 :: v_dual_add_f32 v67, v77, v68
	v_dual_add_f32 v78, v111, v61 :: v_dual_add_f32 v63, v66, v55
	s_delay_alu instid0(VALU_DEP_3) | instskip(SKIP_3) | instid1(VALU_DEP_4)
	v_dual_add_f32 v66, v76, v55 :: v_dual_sub_f32 v55, v74, v105
	v_add_f32_e32 v64, v60, v64
	v_add_f32_e32 v76, v108, v103
	v_sub_f32_e32 v60, v61, v111
	v_add_f32_e32 v68, v57, v66
	v_fma_f32 v71, 0xbf3bfb3b, v114, -v71
	v_dual_sub_f32 v66, v66, v57 :: v_dual_add_f32 v57, v105, v74
	v_add_f32_e32 v74, v62, v75
	v_dual_sub_f32 v62, v103, v108 :: v_dual_fmamk_f32 v107, v132, 0x3eae86e6, v128
	v_add_f32_e32 v112, v73, v69
	v_add_f32_e32 v113, v79, v69
	v_add_f32_e32 v114, v71, v69
	v_sub_f32_e32 v69, v67, v56
	v_dual_add_f32 v67, v56, v67 :: v_dual_sub_f32 v56, v63, v106
	v_dual_fmac_f32 v107, 0x3ee1c552, v54 :: v_dual_add_f32 v54, v106, v63
	v_add_f32_e32 v71, v104, v65
	v_sub_f32_e32 v65, v65, v104
	v_sub_f32_e32 v79, v114, v110
	s_delay_alu instid0(VALU_DEP_4)
	v_sub_f32_e32 v77, v112, v107
	v_add_f32_e32 v73, v109, v113
	v_sub_f32_e32 v75, v113, v109
	v_add_f32_e32 v61, v110, v114
	v_add_f32_e32 v63, v107, v112
	ds_store_2addr_b64 v101, v[54:55], v[76:77] offset0:110 offset1:229
	ds_store_2addr_b64 v102, v[68:69], v[78:79] offset0:92 offset1:211
	;; [unrolled: 1-line block ×6, first 2 shown]
	s_waitcnt lgkmcnt(0)
	s_barrier
	buffer_gl0_inv
	s_and_saveexec_b32 s1, vcc_lo
	s_cbranch_execz .LBB0_9
; %bb.8:
	v_add_co_u32 v103, s0, s12, v115
	s_delay_alu instid0(VALU_DEP_1) | instskip(SKIP_1) | instid1(VALU_DEP_3)
	v_add_co_ci_u32_e64 v104, null, s13, 0, s0
	v_add_nc_u32_e32 v175, 0x800, v118
	v_add_co_u32 v97, s0, 0x3000, v103
	s_delay_alu instid0(VALU_DEP_1) | instskip(SKIP_1) | instid1(VALU_DEP_1)
	v_add_co_ci_u32_e64 v98, s0, 0, v104, s0
	v_add_co_u32 v99, s0, 0x3410, v103
	v_add_co_ci_u32_e64 v100, s0, 0, v104, s0
	global_load_b64 v[97:98], v[97:98], off offset:1040
	v_add_co_u32 v101, s0, 0x4000, v103
	global_load_b64 v[113:114], v[99:100], off offset:784
	v_add_co_ci_u32_e64 v102, s0, 0, v104, s0
	s_clause 0x5
	global_load_b64 v[144:145], v[99:100], off offset:1568
	global_load_b64 v[146:147], v[99:100], off offset:2352
	;; [unrolled: 1-line block ×6, first 2 shown]
	v_add_co_u32 v99, s0, 0x5000, v103
	s_delay_alu instid0(VALU_DEP_1)
	v_add_co_ci_u32_e64 v100, s0, 0, v104, s0
	s_clause 0x4
	global_load_b64 v[156:157], v[101:102], off offset:3216
	global_load_b64 v[158:159], v[101:102], off offset:4000
	global_load_b64 v[160:161], v[99:100], off offset:688
	global_load_b64 v[162:163], v[99:100], off offset:1472
	global_load_b64 v[164:165], v[99:100], off offset:2256
	v_add_co_u32 v101, s0, 0x6000, v103
	s_delay_alu instid0(VALU_DEP_1)
	v_add_co_ci_u32_e64 v102, s0, 0, v104, s0
	s_clause 0x3
	global_load_b64 v[166:167], v[99:100], off offset:3040
	global_load_b64 v[168:169], v[99:100], off offset:3824
	;; [unrolled: 1-line block ×4, first 2 shown]
	ds_load_b64 v[99:100], v117
	s_waitcnt vmcnt(16) lgkmcnt(0)
	v_mul_f32_e32 v101, v100, v98
	v_mul_f32_e32 v102, v99, v98
	s_delay_alu instid0(VALU_DEP_2) | instskip(NEXT) | instid1(VALU_DEP_2)
	v_fma_f32 v101, v99, v97, -v101
	v_fmac_f32_e32 v102, v100, v97
	ds_store_b64 v117, v[101:102]
	ds_load_2addr_b64 v[97:100], v118 offset0:98 offset1:196
	ds_load_2addr_b64 v[101:104], v175 offset0:38 offset1:136
	v_add_nc_u32_e32 v176, 0xc00, v118
	v_add_nc_u32_e32 v177, 0x1400, v118
	;; [unrolled: 1-line block ×4, first 2 shown]
	s_waitcnt vmcnt(15) lgkmcnt(1)
	v_mul_f32_e32 v182, v98, v114
	s_waitcnt vmcnt(14)
	v_dual_mul_f32 v174, v97, v114 :: v_dual_mul_f32 v183, v100, v145
	v_mul_f32_e32 v114, v99, v145
	s_waitcnt vmcnt(13) lgkmcnt(0)
	v_mul_f32_e32 v184, v102, v147
	ds_load_2addr_b64 v[109:112], v177 offset0:46 offset1:144
	v_mul_f32_e32 v145, v101, v147
	ds_load_2addr_b64 v[105:108], v176 offset0:106 offset1:204
	v_add_nc_u32_e32 v179, 0x2000, v118
	v_add_nc_u32_e32 v181, 0x2c00, v118
	s_waitcnt vmcnt(12)
	v_mul_f32_e32 v185, v104, v149
	v_mul_f32_e32 v147, v103, v149
	v_dual_fmac_f32 v145, v102, v146 :: v_dual_fmac_f32 v114, v100, v144
	s_waitcnt vmcnt(10) lgkmcnt(1)
	s_delay_alu instid0(VALU_DEP_2)
	v_dual_fmac_f32 v147, v104, v148 :: v_dual_mul_f32 v188, v110, v153
	s_waitcnt vmcnt(9) lgkmcnt(0)
	v_mul_f32_e32 v186, v106, v155
	ds_load_2addr_b64 v[128:131], v178 offset0:114 offset1:212
	ds_load_2addr_b64 v[132:135], v179 offset0:54 offset1:152
	;; [unrolled: 1-line block ×4, first 2 shown]
	v_mul_f32_e32 v149, v105, v155
	v_mul_f32_e32 v187, v108, v151
	v_dual_mul_f32 v155, v107, v151 :: v_dual_fmac_f32 v174, v98, v113
	v_mul_f32_e32 v151, v109, v153
	s_waitcnt vmcnt(8)
	v_mul_f32_e32 v189, v112, v157
	v_mul_f32_e32 v153, v111, v157
	v_fmac_f32_e32 v149, v106, v154
	v_fmac_f32_e32 v155, v108, v150
	s_waitcnt vmcnt(7) lgkmcnt(3)
	v_dual_fmac_f32 v151, v110, v152 :: v_dual_mul_f32 v190, v129, v159
	s_waitcnt vmcnt(5) lgkmcnt(2)
	v_mul_f32_e32 v192, v133, v163
	v_mul_f32_e32 v157, v128, v159
	s_waitcnt vmcnt(3) lgkmcnt(1)
	v_dual_mul_f32 v191, v131, v161 :: v_dual_mul_f32 v194, v137, v167
	s_waitcnt vmcnt(1) lgkmcnt(0)
	v_dual_mul_f32 v159, v130, v161 :: v_dual_mul_f32 v196, v141, v171
	v_mul_f32_e32 v161, v132, v163
	v_mul_f32_e32 v193, v135, v165
	;; [unrolled: 1-line block ×7, first 2 shown]
	s_waitcnt vmcnt(0)
	v_mul_f32_e32 v197, v143, v173
	v_mul_f32_e32 v171, v142, v173
	v_fma_f32 v173, v97, v113, -v182
	v_fma_f32 v113, v99, v144, -v183
	v_fma_f32 v144, v101, v146, -v184
	v_fma_f32 v146, v103, v148, -v185
	v_fma_f32 v148, v105, v154, -v186
	v_fma_f32 v154, v107, v150, -v187
	v_fma_f32 v150, v109, v152, -v188
	v_fma_f32 v152, v111, v156, -v189
	v_fmac_f32_e32 v153, v112, v156
	v_fma_f32 v156, v128, v158, -v190
	v_fmac_f32_e32 v157, v129, v158
	v_fma_f32 v158, v130, v160, -v191
	v_fmac_f32_e32 v159, v131, v160
	v_fma_f32 v160, v132, v162, -v192
	v_fmac_f32_e32 v161, v133, v162
	v_fma_f32 v162, v134, v164, -v193
	v_fmac_f32_e32 v163, v135, v164
	v_fma_f32 v164, v136, v166, -v194
	v_fmac_f32_e32 v165, v137, v166
	v_fma_f32 v166, v138, v168, -v195
	v_fmac_f32_e32 v167, v139, v168
	v_fma_f32 v168, v140, v170, -v196
	v_fmac_f32_e32 v169, v141, v170
	v_fma_f32 v170, v142, v172, -v197
	v_fmac_f32_e32 v171, v143, v172
	ds_store_2addr_b64 v118, v[173:174], v[113:114] offset0:98 offset1:196
	ds_store_2addr_b64 v175, v[144:145], v[146:147] offset0:38 offset1:136
	;; [unrolled: 1-line block ×8, first 2 shown]
.LBB0_9:
	s_or_b32 exec_lo, exec_lo, s1
	s_waitcnt lgkmcnt(0)
	s_barrier
	buffer_gl0_inv
	s_and_saveexec_b32 s0, vcc_lo
	s_cbranch_execz .LBB0_11
; %bb.10:
	v_add_nc_u32_e32 v0, 0x400, v117
	v_add_nc_u32_e32 v1, 0x800, v117
	;; [unrolled: 1-line block ×3, first 2 shown]
	ds_load_2addr_b64 v[52:55], v117 offset1:98
	v_add_nc_u32_e32 v3, 0x2000, v117
	ds_load_2addr_b64 v[68:71], v0 offset0:68 offset1:166
	ds_load_2addr_b64 v[64:67], v1 offset0:136 offset1:234
	v_add_nc_u32_e32 v0, 0x1800, v117
	v_add_nc_u32_e32 v1, 0x1c00, v117
	v_add_nc_u32_e32 v81, 0x2800, v117
	ds_load_2addr_b64 v[56:59], v2 offset0:76 offset1:174
	ds_load_2addr_b64 v[76:79], v0 offset0:16 offset1:114
	;; [unrolled: 1-line block ×5, first 2 shown]
	ds_load_b64 v[81:82], v117 offset:12544
.LBB0_11:
	s_or_b32 exec_lo, exec_lo, s0
	s_waitcnt lgkmcnt(0)
	s_barrier
	buffer_gl0_inv
	s_and_saveexec_b32 s0, vcc_lo
	s_cbranch_execz .LBB0_13
; %bb.12:
	v_dual_sub_f32 v133, v54, v81 :: v_dual_sub_f32 v130, v68, v2
	v_dual_add_f32 v158, v82, v55 :: v_dual_add_f32 v157, v3, v69
	v_dual_sub_f32 v128, v70, v0 :: v_dual_sub_f32 v129, v64, v62
	s_delay_alu instid0(VALU_DEP_3) | instskip(SKIP_1) | instid1(VALU_DEP_2)
	v_dual_mul_f32 v110, 0xbf763a35, v133 :: v_dual_sub_f32 v131, v66, v60
	v_dual_add_f32 v156, v1, v71 :: v_dual_add_f32 v153, v63, v65
	v_dual_add_f32 v154, v61, v67 :: v_dual_fmamk_f32 v97, v158, 0xbe8c1d8e, v110
	v_mul_f32_e32 v114, 0x3f06c442, v130
	v_dual_mul_f32 v160, 0x3f2c7751, v128 :: v_dual_add_f32 v155, v75, v57
	v_dual_sub_f32 v132, v56, v74 :: v_dual_mul_f32 v163, 0xbf65296c, v129
	s_delay_alu instid0(VALU_DEP_4) | instskip(NEXT) | instid1(VALU_DEP_4)
	v_add_f32_e32 v97, v53, v97
	v_dual_fmamk_f32 v98, v157, 0xbf59a7d5, v114 :: v_dual_sub_f32 v147, v55, v82
	s_delay_alu instid0(VALU_DEP_4) | instskip(NEXT) | instid1(VALU_DEP_2)
	v_dual_fmamk_f32 v99, v156, 0x3f3d2fb0, v160 :: v_dual_add_f32 v136, v81, v54
	v_dual_mul_f32 v164, 0xbe3c28d5, v131 :: v_dual_add_f32 v97, v98, v97
	v_fmamk_f32 v98, v153, 0x3ee437d1, v163
	v_dual_sub_f32 v144, v69, v3 :: v_dual_mul_f32 v165, 0x3f7ee86f, v132
	v_add_f32_e32 v137, v2, v68
	s_delay_alu instid0(VALU_DEP_4) | instskip(NEXT) | instid1(VALU_DEP_3)
	v_dual_add_f32 v97, v99, v97 :: v_dual_mul_f32 v166, 0xbf763a35, v147
	v_dual_mul_f32 v109, 0x3f06c442, v144 :: v_dual_add_f32 v138, v0, v70
	v_dual_sub_f32 v145, v71, v1 :: v_dual_sub_f32 v146, v65, v63
	s_delay_alu instid0(VALU_DEP_3) | instskip(NEXT) | instid1(VALU_DEP_4)
	v_add_f32_e32 v97, v98, v97
	v_fma_f32 v100, 0xbe8c1d8e, v136, -v166
	v_fmamk_f32 v99, v154, 0xbf7ba420, v164
	v_fmamk_f32 v98, v155, 0x3dbcf732, v165
	v_sub_f32_e32 v134, v58, v72
	v_dual_mul_f32 v112, 0x3f2c7751, v145 :: v_dual_add_f32 v151, v73, v59
	s_delay_alu instid0(VALU_DEP_4) | instskip(SKIP_1) | instid1(VALU_DEP_4)
	v_dual_add_f32 v100, v52, v100 :: v_dual_add_f32 v97, v99, v97
	v_fma_f32 v99, 0xbf59a7d5, v137, -v109
	v_dual_mul_f32 v111, 0xbeb8f4ab, v134 :: v_dual_sub_f32 v148, v67, v61
	v_add_f32_e32 v139, v62, v64
	s_delay_alu instid0(VALU_DEP_3) | instskip(SKIP_4) | instid1(VALU_DEP_4)
	v_dual_add_f32 v97, v98, v97 :: v_dual_add_f32 v98, v99, v100
	v_fma_f32 v99, 0x3f3d2fb0, v138, -v112
	v_dual_mul_f32 v113, 0xbf65296c, v146 :: v_dual_add_f32 v152, v79, v77
	v_dual_fmamk_f32 v100, v151, 0x3f6eb680, v111 :: v_dual_sub_f32 v135, v76, v78
	v_mul_f32_e32 v162, 0xbe3c28d5, v148
	v_add_f32_e32 v98, v99, v98
	s_delay_alu instid0(VALU_DEP_4) | instskip(NEXT) | instid1(VALU_DEP_4)
	v_fma_f32 v99, 0x3ee437d1, v139, -v113
	v_add_f32_e32 v97, v100, v97
	v_dual_add_f32 v140, v60, v66 :: v_dual_mul_f32 v161, 0xbf4c4adb, v135
	s_delay_alu instid0(VALU_DEP_3) | instskip(SKIP_1) | instid1(VALU_DEP_3)
	v_dual_sub_f32 v149, v57, v75 :: v_dual_add_f32 v98, v99, v98
	v_dual_mul_f32 v107, 0xbf4c4adb, v133 :: v_dual_add_f32 v142, v74, v56
	v_fma_f32 v99, 0xbf7ba420, v140, -v162
	s_delay_alu instid0(VALU_DEP_3) | instskip(SKIP_2) | instid1(VALU_DEP_4)
	v_mul_f32_e32 v167, 0x3f7ee86f, v149
	v_dual_sub_f32 v150, v59, v73 :: v_dual_add_f32 v141, v72, v58
	v_mul_f32_e32 v170, 0xbf06c442, v129
	v_dual_add_f32 v98, v99, v98 :: v_dual_fmamk_f32 v99, v158, 0xbf1a4643, v107
	v_mul_f32_e32 v108, 0x3f763a35, v130
	v_fma_f32 v100, 0x3dbcf732, v142, -v167
	v_dual_mul_f32 v168, 0xbeb8f4ab, v150 :: v_dual_mul_f32 v169, 0xbeb8f4ab, v128
	s_delay_alu instid0(VALU_DEP_4) | instskip(NEXT) | instid1(VALU_DEP_3)
	v_add_f32_e32 v99, v53, v99
	v_dual_fmamk_f32 v101, v157, 0xbe8c1d8e, v108 :: v_dual_add_f32 v100, v100, v98
	v_fmamk_f32 v102, v152, 0xbf1a4643, v161
	s_delay_alu instid0(VALU_DEP_4) | instskip(SKIP_1) | instid1(VALU_DEP_4)
	v_fma_f32 v103, 0x3f6eb680, v141, -v168
	v_mul_f32_e32 v171, 0x3f7ee86f, v131
	v_add_f32_e32 v99, v101, v99
	s_delay_alu instid0(VALU_DEP_4) | instskip(NEXT) | instid1(VALU_DEP_4)
	v_dual_fmamk_f32 v101, v156, 0x3f6eb680, v169 :: v_dual_add_f32 v98, v102, v97
	v_dual_add_f32 v97, v103, v100 :: v_dual_fmamk_f32 v100, v153, 0xbf59a7d5, v170
	v_mul_f32_e32 v173, 0xbf2c7751, v132
	s_delay_alu instid0(VALU_DEP_3) | instskip(SKIP_2) | instid1(VALU_DEP_3)
	v_add_f32_e32 v99, v101, v99
	v_dual_add_f32 v143, v78, v76 :: v_dual_mul_f32 v172, 0xbf4c4adb, v147
	v_dual_sub_f32 v159, v77, v79 :: v_dual_mul_f32 v176, 0xbe3c28d5, v134
	v_dual_add_f32 v99, v100, v99 :: v_dual_fmamk_f32 v100, v154, 0x3dbcf732, v171
	s_delay_alu instid0(VALU_DEP_3) | instskip(SKIP_2) | instid1(VALU_DEP_4)
	v_fma_f32 v101, 0xbf1a4643, v136, -v172
	v_mul_f32_e32 v178, 0xbf06c442, v146
	v_mul_f32_e32 v106, 0x3f65296c, v130
	v_dual_mul_f32 v196, 0x3eb8f4ab, v130 :: v_dual_add_f32 v99, v100, v99
	v_fmamk_f32 v100, v155, 0x3f3d2fb0, v173
	v_dual_mul_f32 v174, 0xbf4c4adb, v159 :: v_dual_add_f32 v101, v52, v101
	v_mul_f32_e32 v206, 0x3eb8f4ab, v144
	v_mul_f32_e32 v105, 0xbf06c442, v133
	s_delay_alu instid0(VALU_DEP_4) | instskip(NEXT) | instid1(VALU_DEP_4)
	v_dual_add_f32 v99, v100, v99 :: v_dual_fmamk_f32 v100, v151, 0xbf7ba420, v176
	v_fma_f32 v103, 0xbf1a4643, v143, -v174
	s_delay_alu instid0(VALU_DEP_4)
	v_fma_f32 v208, 0x3f6eb680, v137, -v206
	v_fmamk_f32 v198, v157, 0x3f6eb680, v196
	v_mul_f32_e32 v177, 0xbeb8f4ab, v145
	v_add_f32_e32 v99, v100, v99
	v_add_f32_e32 v97, v103, v97
	v_fmamk_f32 v103, v157, 0x3ee437d1, v106
	v_mul_f32_e32 v175, 0x3f763a35, v144
	v_mul_f32_e32 v179, 0x3f7ee86f, v148
	v_mul_f32_e32 v180, 0x3f65296c, v135
	v_mul_f32_e32 v183, 0xbe3c28d5, v150
	v_dual_mul_f32 v188, 0x3f65296c, v159 :: v_dual_mul_f32 v189, 0x3f65296c, v144
	v_fma_f32 v102, 0xbe8c1d8e, v137, -v175
	s_delay_alu instid0(VALU_DEP_4)
	v_fmamk_f32 v104, v152, 0x3ee437d1, v180
	v_mul_f32_e32 v181, 0xbf2c7751, v149
	v_fma_f32 v185, 0xbf7ba420, v141, -v183
	v_mul_f32_e32 v191, 0xbf7ee86f, v145
	v_add_f32_e32 v101, v102, v101
	v_fma_f32 v102, 0x3f6eb680, v138, -v177
	v_fma_f32 v192, 0x3ee437d1, v143, -v188
	v_mul_f32_e32 v199, 0xbf06c442, v128
	v_mul_f32_e32 v201, 0x3f2c7751, v129
	v_fma_f32 v106, 0x3ee437d1, v157, -v106
	v_add_f32_e32 v100, v102, v101
	v_fma_f32 v101, 0xbf59a7d5, v139, -v178
	v_mul_f32_e32 v209, 0xbf06c442, v145
	v_mul_f32_e32 v212, 0x3f65296c, v149
	v_fma_f32 v107, 0xbf1a4643, v158, -v107
	v_fma_f32 v110, 0xbe8c1d8e, v158, -v110
	v_add_f32_e32 v100, v101, v100
	v_fma_f32 v101, 0x3dbcf732, v140, -v179
	v_fma_f32 v169, 0x3f6eb680, v156, -v169
	v_fma_f32 v114, 0xbf59a7d5, v157, -v114
	v_add_f32_e32 v110, v53, v110
	v_fma_f32 v163, 0x3ee437d1, v153, -v163
	v_add_f32_e32 v100, v101, v100
	v_fmamk_f32 v102, v158, 0xbf59a7d5, v105
	v_fma_f32 v101, 0x3f3d2fb0, v142, -v181
	v_mul_f32_e32 v184, 0x3f4c4adb, v129
	v_fma_f32 v105, 0xbf59a7d5, v158, -v105
	v_mul_f32_e32 v204, 0xbf4c4adb, v131
	v_add_f32_e32 v102, v53, v102
	v_add_f32_e32 v101, v101, v100
	v_mul_f32_e32 v182, 0xbf7ee86f, v128
	v_add_f32_e32 v100, v104, v99
	v_fma_f32 v104, 0x3ee437d1, v137, -v189
	s_delay_alu instid0(VALU_DEP_4) | instskip(NEXT) | instid1(VALU_DEP_4)
	v_dual_add_f32 v102, v103, v102 :: v_dual_add_f32 v99, v185, v101
	v_fmamk_f32 v103, v156, 0x3dbcf732, v182
	v_mul_f32_e32 v185, 0xbf06c442, v147
	v_dual_mul_f32 v194, 0xbeb8f4ab, v148 :: v_dual_add_f32 v105, v53, v105
	s_delay_alu instid0(VALU_DEP_3)
	v_dual_add_f32 v99, v192, v99 :: v_dual_add_f32 v102, v103, v102
	v_fmamk_f32 v103, v153, 0xbf1a4643, v184
	v_mul_f32_e32 v192, 0xbe3c28d5, v133
	v_fma_f32 v182, 0x3dbcf732, v156, -v182
	v_add_f32_e32 v110, v114, v110
	v_mul_f32_e32 v200, 0x3f2c7751, v150
	v_dual_add_f32 v101, v103, v102 :: v_dual_mul_f32 v186, 0xbeb8f4ab, v131
	v_fma_f32 v103, 0xbf59a7d5, v136, -v185
	v_fma_f32 v114, 0x3f3d2fb0, v156, -v160
	s_delay_alu instid0(VALU_DEP_4) | instskip(SKIP_1) | instid1(VALU_DEP_4)
	v_fma_f32 v203, 0x3f3d2fb0, v141, -v200
	v_fma_f32 v171, 0x3dbcf732, v154, -v171
	v_dual_fmamk_f32 v102, v154, 0x3f6eb680, v186 :: v_dual_add_f32 v103, v52, v103
	s_delay_alu instid0(VALU_DEP_4) | instskip(SKIP_2) | instid1(VALU_DEP_4)
	v_add_f32_e32 v114, v114, v110
	v_fmac_f32_e32 v166, 0xbe8c1d8e, v136
	v_fma_f32 v111, 0x3f6eb680, v151, -v111
	v_add_f32_e32 v101, v102, v101
	v_add_f32_e32 v103, v104, v103
	v_fma_f32 v104, 0x3dbcf732, v138, -v191
	v_mul_f32_e32 v187, 0xbe3c28d5, v132
	v_dual_add_f32 v105, v106, v105 :: v_dual_add_f32 v114, v163, v114
	v_fma_f32 v163, 0xbf7ba420, v154, -v164
	v_add_f32_e32 v164, v52, v166
	s_delay_alu instid0(VALU_DEP_4) | instskip(SKIP_3) | instid1(VALU_DEP_4)
	v_fmamk_f32 v102, v155, 0xbf7ba420, v187
	v_mul_f32_e32 v190, 0x3f2c7751, v134
	v_fmac_f32_e32 v188, 0x3ee437d1, v143
	v_fmac_f32_e32 v200, 0x3f3d2fb0, v141
	v_dual_fmac_f32 v112, 0x3f3d2fb0, v138 :: v_dual_add_f32 v101, v102, v101
	s_delay_alu instid0(VALU_DEP_4) | instskip(SKIP_3) | instid1(VALU_DEP_4)
	v_fmamk_f32 v102, v151, 0x3f3d2fb0, v190
	v_fmac_f32_e32 v162, 0xbf7ba420, v140
	v_dual_mul_f32 v166, 0xbe8c1d8e, v156 :: v_dual_add_f32 v55, v55, v53
	v_add_f32_e32 v105, v182, v105
	v_dual_add_f32 v101, v102, v101 :: v_dual_add_f32 v102, v104, v103
	v_fmamk_f32 v104, v158, 0xbf7ba420, v192
	v_fma_f32 v192, 0xbf7ba420, v158, -v192
	v_fma_f32 v182, 0xbf1a4643, v153, -v184
	v_fmac_f32_e32 v189, 0x3ee437d1, v137
	v_add_f32_e32 v107, v53, v107
	v_add_f32_e32 v104, v53, v104
	s_delay_alu instid0(VALU_DEP_4) | instskip(SKIP_2) | instid1(VALU_DEP_4)
	v_dual_add_f32 v192, v53, v192 :: v_dual_add_f32 v105, v182, v105
	v_fma_f32 v182, 0x3f6eb680, v154, -v186
	v_fmac_f32_e32 v206, 0x3f6eb680, v137
	v_add_f32_e32 v104, v198, v104
	v_fmamk_f32 v198, v156, 0xbf59a7d5, v199
	v_fma_f32 v186, 0x3f3d2fb0, v151, -v190
	v_add_f32_e32 v105, v182, v105
	v_fma_f32 v182, 0xbf7ba420, v155, -v187
	s_delay_alu instid0(VALU_DEP_4) | instskip(SKIP_4) | instid1(VALU_DEP_4)
	v_dual_fmac_f32 v175, 0xbe8c1d8e, v137 :: v_dual_add_f32 v104, v198, v104
	v_fmamk_f32 v198, v153, 0x3f3d2fb0, v201
	v_mul_f32_e32 v195, 0xbf763a35, v135
	v_fmac_f32_e32 v177, 0x3f6eb680, v138
	v_fmac_f32_e32 v179, 0x3dbcf732, v140
	v_dual_fmac_f32 v181, 0x3f3d2fb0, v142 :: v_dual_add_f32 v104, v198, v104
	s_delay_alu instid0(VALU_DEP_4)
	v_fmamk_f32 v202, v152, 0xbe8c1d8e, v195
	v_mul_f32_e32 v193, 0x3f4c4adb, v146
	v_fmac_f32_e32 v109, 0xbf59a7d5, v137
	v_fmac_f32_e32 v183, 0xbf7ba420, v141
	v_fmac_f32_e32 v167, 0x3dbcf732, v142
	v_fmac_f32_e32 v113, 0x3ee437d1, v139
	v_fma_f32 v103, 0xbf1a4643, v139, -v193
	v_dual_add_f32 v164, v109, v164 :: v_dual_mul_f32 v187, 0x3dbcf732, v151
	v_add_f32_e32 v54, v54, v52
	v_mul_f32_e32 v214, 0x3eb8f4ab, v159
	s_delay_alu instid0(VALU_DEP_4)
	v_dual_add_f32 v102, v103, v102 :: v_dual_fmac_f32 v185, 0xbf59a7d5, v136
	v_fma_f32 v103, 0x3f6eb680, v140, -v194
	v_fmamk_f32 v198, v154, 0xbf1a4643, v204
	v_add_f32_e32 v112, v112, v164
	v_add_f32_e32 v54, v68, v54
	;; [unrolled: 1-line block ×3, first 2 shown]
	s_delay_alu instid0(VALU_DEP_4) | instskip(SKIP_2) | instid1(VALU_DEP_4)
	v_dual_mul_f32 v197, 0xbe3c28d5, v149 :: v_dual_add_f32 v104, v198, v104
	v_add_f32_e32 v102, v103, v102
	v_fmac_f32_e32 v191, 0x3dbcf732, v138
	v_add_f32_e32 v185, v189, v185
	s_delay_alu instid0(VALU_DEP_4) | instskip(SKIP_1) | instid1(VALU_DEP_3)
	v_fma_f32 v103, 0xbf7ba420, v142, -v197
	v_dual_fmac_f32 v197, 0xbf7ba420, v142 :: v_dual_add_f32 v112, v113, v112
	v_dual_add_f32 v54, v70, v54 :: v_dual_add_f32 v185, v191, v185
	s_delay_alu instid0(VALU_DEP_3) | instskip(SKIP_1) | instid1(VALU_DEP_4)
	v_dual_add_f32 v103, v103, v102 :: v_dual_add_f32 v102, v202, v101
	v_mul_f32_e32 v202, 0x3f65296c, v132
	v_dual_fmac_f32 v193, 0xbf1a4643, v139 :: v_dual_add_f32 v112, v162, v112
	s_delay_alu instid0(VALU_DEP_3) | instskip(SKIP_1) | instid1(VALU_DEP_4)
	v_add_f32_e32 v101, v203, v103
	v_mul_f32_e32 v203, 0xbf763a35, v159
	v_fmamk_f32 v198, v155, 0x3ee437d1, v202
	v_fma_f32 v196, 0x3f6eb680, v157, -v196
	v_mul_f32_e32 v207, 0xbf763a35, v134
	v_mul_f32_e32 v162, 0x3ee437d1, v154
	v_fma_f32 v210, 0xbe8c1d8e, v143, -v203
	v_add_f32_e32 v104, v198, v104
	v_add_f32_e32 v192, v196, v192
	v_fmamk_f32 v198, v151, 0xbe8c1d8e, v207
	v_mul_f32_e32 v103, 0xbe3c28d5, v147
	v_dual_add_f32 v101, v210, v101 :: v_dual_mul_f32 v210, 0x3f7ee86f, v135
	s_delay_alu instid0(VALU_DEP_3) | instskip(NEXT) | instid1(VALU_DEP_3)
	v_dual_fmac_f32 v203, 0xbe8c1d8e, v143 :: v_dual_add_f32 v104, v198, v104
	v_fma_f32 v205, 0xbf7ba420, v136, -v103
	s_delay_alu instid0(VALU_DEP_3) | instskip(SKIP_2) | instid1(VALU_DEP_3)
	v_dual_add_f32 v182, v182, v105 :: v_dual_fmamk_f32 v213, v152, 0x3dbcf732, v210
	v_mul_f32_e32 v211, 0x3f2c7751, v146
	v_mul_f32_e32 v191, 0x3f3d2fb0, v158
	v_dual_add_f32 v205, v52, v205 :: v_dual_add_f32 v182, v186, v182
	s_delay_alu instid0(VALU_DEP_4) | instskip(SKIP_1) | instid1(VALU_DEP_3)
	v_add_f32_e32 v104, v213, v104
	v_fma_f32 v186, 0xbe8c1d8e, v157, -v108
	v_dual_mul_f32 v68, 0xbf2c7751, v144 :: v_dual_add_f32 v205, v208, v205
	v_fma_f32 v208, 0xbf59a7d5, v138, -v209
	v_add_f32_e32 v55, v69, v55
	s_delay_alu instid0(VALU_DEP_4) | instskip(SKIP_1) | instid1(VALU_DEP_4)
	v_dual_add_f32 v107, v186, v107 :: v_dual_add_f32 v54, v64, v54
	v_mul_f32_e32 v70, 0xbf65296c, v145
	v_add_f32_e32 v198, v208, v205
	v_fma_f32 v205, 0x3f3d2fb0, v139, -v211
	v_mul_f32_e32 v208, 0xbf4c4adb, v148
	v_fma_f32 v196, 0xbf59a7d5, v156, -v199
	v_fma_f32 v199, 0x3ee437d1, v142, -v212
	s_delay_alu instid0(VALU_DEP_4) | instskip(NEXT) | instid1(VALU_DEP_4)
	v_dual_fmac_f32 v211, 0x3f3d2fb0, v139 :: v_dual_add_f32 v198, v205, v198
	v_fma_f32 v205, 0xbf1a4643, v140, -v208
	s_delay_alu instid0(VALU_DEP_4) | instskip(SKIP_2) | instid1(VALU_DEP_4)
	v_add_f32_e32 v192, v196, v192
	v_fma_f32 v196, 0x3f3d2fb0, v153, -v201
	v_fmac_f32_e32 v209, 0xbf59a7d5, v138
	v_dual_mul_f32 v201, 0x3f7ee86f, v159 :: v_dual_add_f32 v198, v205, v198
	s_delay_alu instid0(VALU_DEP_3) | instskip(SKIP_2) | instid1(VALU_DEP_4)
	v_dual_mul_f32 v205, 0xbf763a35, v150 :: v_dual_add_f32 v192, v196, v192
	v_fma_f32 v196, 0xbf1a4643, v154, -v204
	v_dual_fmac_f32 v208, 0xbf1a4643, v140 :: v_dual_add_f32 v107, v169, v107
	v_add_f32_e32 v198, v199, v198
	s_delay_alu instid0(VALU_DEP_4) | instskip(NEXT) | instid1(VALU_DEP_4)
	v_fma_f32 v199, 0xbe8c1d8e, v141, -v205
	v_add_f32_e32 v192, v196, v192
	v_fma_f32 v196, 0x3ee437d1, v155, -v202
	v_fmac_f32_e32 v103, 0xbf7ba420, v136
	s_delay_alu instid0(VALU_DEP_4) | instskip(SKIP_1) | instid1(VALU_DEP_4)
	v_dual_fmac_f32 v205, 0xbe8c1d8e, v141 :: v_dual_add_f32 v198, v199, v198
	v_fma_f32 v199, 0x3dbcf732, v143, -v201
	v_add_f32_e32 v192, v196, v192
	v_fma_f32 v196, 0xbe8c1d8e, v151, -v207
	v_add_f32_e32 v204, v52, v103
	v_fmac_f32_e32 v201, 0x3dbcf732, v143
	v_add_f32_e32 v103, v199, v198
	v_fma_f32 v169, 0xbf59a7d5, v153, -v170
	v_add_f32_e32 v192, v196, v192
	v_fma_f32 v196, 0x3dbcf732, v152, -v210
	v_add_f32_e32 v198, v206, v204
	s_delay_alu instid0(VALU_DEP_4) | instskip(SKIP_1) | instid1(VALU_DEP_4)
	v_dual_fmac_f32 v212, 0x3ee437d1, v142 :: v_dual_add_f32 v169, v169, v107
	v_fmac_f32_e32 v194, 0x3f6eb680, v140
	v_add_f32_e32 v106, v196, v192
	s_delay_alu instid0(VALU_DEP_4) | instskip(NEXT) | instid1(VALU_DEP_4)
	v_add_f32_e32 v198, v209, v198
	v_dual_mul_f32 v210, 0xbe3c28d5, v146 :: v_dual_add_f32 v169, v171, v169
	v_fma_f32 v171, 0x3f3d2fb0, v155, -v173
	v_mul_f32_e32 v173, 0x3ee437d1, v158
	s_delay_alu instid0(VALU_DEP_4)
	v_add_f32_e32 v198, v211, v198
	v_add_f32_e32 v114, v163, v114
	v_fma_f32 v163, 0x3dbcf732, v155, -v165
	v_add_f32_e32 v169, v171, v169
	v_fma_f32 v171, 0xbf7ba420, v151, -v176
	v_add_f32_e32 v184, v208, v198
	v_mul_f32_e32 v176, 0xbf1a4643, v157
	v_add_f32_e32 v114, v163, v114
	v_fmac_f32_e32 v172, 0xbf1a4643, v136
	s_delay_alu instid0(VALU_DEP_4) | instskip(SKIP_1) | instid1(VALU_DEP_3)
	v_dual_mul_f32 v165, 0x3dbcf732, v158 :: v_dual_add_f32 v184, v212, v184
	v_mul_f32_e32 v163, 0xbf7ba420, v157
	v_dual_add_f32 v111, v111, v114 :: v_dual_add_f32 v172, v52, v172
	s_delay_alu instid0(VALU_DEP_3) | instskip(SKIP_2) | instid1(VALU_DEP_4)
	v_dual_add_f32 v169, v171, v169 :: v_dual_add_f32 v184, v205, v184
	v_fmamk_f32 v114, v128, 0xbf763a35, v166
	v_mul_f32_e32 v171, 0x3f3d2fb0, v152
	v_dual_add_f32 v172, v175, v172 :: v_dual_mul_f32 v175, 0x3eb8f4ab, v146
	s_delay_alu instid0(VALU_DEP_4)
	v_add_f32_e32 v105, v201, v184
	v_add_f32_e32 v184, v193, v185
	v_fma_f32 v185, 0xbe8c1d8e, v152, -v195
	v_mul_f32_e32 v198, 0xbf7ba420, v153
	v_mul_f32_e32 v190, 0x3e3c28d5, v145
	;; [unrolled: 1-line block ×3, first 2 shown]
	v_add_f32_e32 v184, v194, v184
	v_dual_add_f32 v108, v185, v182 :: v_dual_mul_f32 v193, 0x3dbcf732, v157
	v_mul_f32_e32 v194, 0x3f2c7751, v148
	s_delay_alu instid0(VALU_DEP_3) | instskip(SKIP_3) | instid1(VALU_DEP_4)
	v_dual_mul_f32 v185, 0xbf65296c, v147 :: v_dual_add_f32 v182, v197, v184
	v_mul_f32_e32 v184, 0x3f6eb680, v155
	v_mul_f32_e32 v197, 0xbeb8f4ab, v149
	v_fmac_f32_e32 v168, 0x3f6eb680, v141
	v_dual_fmamk_f32 v195, v130, 0x3f7ee86f, v193 :: v_dual_add_f32 v170, v200, v182
	s_delay_alu instid0(VALU_DEP_4)
	v_fmamk_f32 v186, v132, 0x3eb8f4ab, v184
	v_mul_f32_e32 v182, 0x3f3d2fb0, v154
	v_mul_f32_e32 v200, 0xbf59a7d5, v154
	v_mul_f32_e32 v154, 0xbe8c1d8e, v154
	v_dual_add_f32 v107, v203, v170 :: v_dual_add_f32 v170, v177, v172
	v_fmamk_f32 v177, v130, 0x3f4c4adb, v176
	v_fmamk_f32 v164, v130, 0x3e3c28d5, v163
	v_fmac_f32_e32 v178, 0xbf59a7d5, v139
	v_mul_f32_e32 v172, 0x3f763a35, v145
	v_mul_f32_e32 v203, 0xbf2c7751, v147
	;; [unrolled: 1-line block ×3, first 2 shown]
	s_delay_alu instid0(VALU_DEP_4) | instskip(SKIP_3) | instid1(VALU_DEP_4)
	v_dual_mul_f32 v205, 0xbf7ee86f, v144 :: v_dual_add_f32 v170, v178, v170
	v_mul_f32_e32 v178, 0xbf7ba420, v156
	v_mul_f32_e32 v202, 0xbe8c1d8e, v155
	;; [unrolled: 1-line block ×3, first 2 shown]
	v_dual_fmamk_f32 v207, v137, 0x3dbcf732, v205 :: v_dual_add_f32 v160, v179, v170
	v_fma_f32 v170, 0x3ee437d1, v152, -v180
	v_mul_f32_e32 v179, 0xbf06c442, v149
	v_mul_f32_e32 v180, 0xbe8c1d8e, v153
	v_mul_f32_e32 v196, 0xbf1a4643, v156
	v_add_f32_e32 v160, v181, v160
	v_dual_add_f32 v110, v170, v169 :: v_dual_mul_f32 v169, 0xbf1a4643, v151
	v_mul_f32_e32 v181, 0x3f4c4adb, v150
	v_fmac_f32_e32 v174, 0xbf1a4643, v143
	s_delay_alu instid0(VALU_DEP_4) | instskip(SKIP_3) | instid1(VALU_DEP_4)
	v_add_f32_e32 v160, v183, v160
	v_mul_f32_e32 v170, 0xbe3c28d5, v144
	v_mul_f32_e32 v183, 0x3f2c7751, v159
	;; [unrolled: 1-line block ×3, first 2 shown]
	v_dual_mul_f32 v208, 0xbf4c4adb, v145 :: v_dual_add_f32 v109, v188, v160
	v_fmamk_f32 v160, v133, 0x3f7ee86f, v165
	v_dual_mul_f32 v206, 0x3f6eb680, v152 :: v_dual_mul_f32 v209, 0x3f6eb680, v158
	v_dual_mul_f32 v212, 0x3f763a35, v149 :: v_dual_add_f32 v55, v71, v55
	s_delay_alu instid0(VALU_DEP_3) | instskip(SKIP_2) | instid1(VALU_DEP_4)
	v_add_f32_e32 v160, v53, v160
	v_mul_f32_e32 v156, 0x3ee437d1, v156
	v_dual_add_f32 v54, v66, v54 :: v_dual_fmac_f32 v165, 0xbf7ee86f, v133
	v_add_f32_e32 v55, v65, v55
	s_delay_alu instid0(VALU_DEP_4) | instskip(SKIP_3) | instid1(VALU_DEP_4)
	v_dual_add_f32 v113, v164, v160 :: v_dual_mul_f32 v164, 0x3f6eb680, v153
	v_fma_f32 v160, 0xbf1a4643, v152, -v161
	v_add_f32_e32 v161, v167, v112
	v_mul_f32_e32 v167, 0xbf59a7d5, v155
	v_dual_add_f32 v113, v114, v113 :: v_dual_fmamk_f32 v114, v129, 0xbeb8f4ab, v164
	s_delay_alu instid0(VALU_DEP_4) | instskip(NEXT) | instid1(VALU_DEP_3)
	v_dual_add_f32 v112, v160, v111 :: v_dual_fmamk_f32 v65, v137, 0x3f3d2fb0, v68
	v_fmamk_f32 v160, v132, 0x3f06c442, v167
	v_mul_f32_e32 v153, 0x3dbcf732, v153
	s_delay_alu instid0(VALU_DEP_4) | instskip(SKIP_4) | instid1(VALU_DEP_4)
	v_add_f32_e32 v111, v114, v113
	v_dual_fmamk_f32 v113, v131, 0x3f65296c, v162 :: v_dual_add_f32 v114, v168, v161
	v_mul_f32_e32 v168, 0xbf7ee86f, v147
	v_fmamk_f32 v161, v137, 0xbf7ba420, v170
	v_mul_f32_e32 v155, 0xbf1a4643, v155
	v_add_f32_e32 v113, v113, v111
	s_delay_alu instid0(VALU_DEP_4) | instskip(SKIP_2) | instid1(VALU_DEP_4)
	v_dual_add_f32 v111, v174, v114 :: v_dual_fmamk_f32 v114, v136, 0x3dbcf732, v168
	v_fmamk_f32 v174, v138, 0xbe8c1d8e, v172
	v_mul_f32_e32 v147, 0xbeb8f4ab, v147
	v_dual_add_f32 v113, v160, v113 :: v_dual_fmamk_f32 v160, v134, 0xbf4c4adb, v169
	s_delay_alu instid0(VALU_DEP_4) | instskip(SKIP_2) | instid1(VALU_DEP_4)
	v_dual_add_f32 v114, v52, v114 :: v_dual_add_f32 v55, v67, v55
	v_mul_f32_e32 v67, 0xbf7ee86f, v146
	v_fmac_f32_e32 v169, 0x3f4c4adb, v134
	v_dual_add_f32 v113, v160, v113 :: v_dual_fmamk_f32 v160, v135, 0xbf2c7751, v171
	s_delay_alu instid0(VALU_DEP_4)
	v_add_f32_e32 v161, v161, v114
	v_fmac_f32_e32 v167, 0xbf06c442, v132
	v_fmac_f32_e32 v171, 0x3f2c7751, v135
	v_mul_f32_e32 v66, 0xbf7ba420, v152
	v_dual_add_f32 v114, v160, v113 :: v_dual_fmamk_f32 v113, v133, 0x3f65296c, v173
	v_dual_add_f32 v160, v174, v161 :: v_dual_fmamk_f32 v161, v139, 0x3f6eb680, v175
	v_mul_f32_e32 v174, 0xbf65296c, v148
	s_delay_alu instid0(VALU_DEP_3) | instskip(NEXT) | instid1(VALU_DEP_2)
	v_dual_add_f32 v54, v56, v54 :: v_dual_add_f32 v113, v53, v113
	v_dual_add_f32 v160, v161, v160 :: v_dual_fmamk_f32 v161, v140, 0x3ee437d1, v174
	s_delay_alu instid0(VALU_DEP_2) | instskip(SKIP_1) | instid1(VALU_DEP_1)
	v_dual_add_f32 v54, v58, v54 :: v_dual_add_f32 v113, v177, v113
	v_fmamk_f32 v177, v128, 0xbe3c28d5, v178
	v_dual_add_f32 v54, v76, v54 :: v_dual_add_f32 v113, v177, v113
	v_fmamk_f32 v177, v129, 0xbf763a35, v180
	v_fmac_f32_e32 v166, 0x3f763a35, v128
	s_delay_alu instid0(VALU_DEP_2) | instskip(SKIP_1) | instid1(VALU_DEP_2)
	v_dual_add_f32 v54, v78, v54 :: v_dual_add_f32 v113, v177, v113
	v_dual_fmamk_f32 v177, v131, 0xbf2c7751, v182 :: v_dual_add_f32 v160, v161, v160
	v_dual_fmamk_f32 v161, v142, 0xbf59a7d5, v179 :: v_dual_add_f32 v54, v72, v54
	s_delay_alu instid0(VALU_DEP_2) | instskip(NEXT) | instid1(VALU_DEP_2)
	v_dual_mul_f32 v72, 0xbe3c28d5, v159 :: v_dual_add_f32 v177, v177, v113
	v_add_f32_e32 v160, v161, v160
	s_delay_alu instid0(VALU_DEP_3) | instskip(NEXT) | instid1(VALU_DEP_1)
	v_dual_fmamk_f32 v161, v141, 0xbf1a4643, v181 :: v_dual_add_f32 v54, v74, v54
	v_dual_add_f32 v160, v161, v160 :: v_dual_fmamk_f32 v161, v143, 0x3f3d2fb0, v183
	s_delay_alu instid0(VALU_DEP_1)
	v_dual_add_f32 v60, v60, v54 :: v_dual_add_f32 v113, v161, v160
	v_add_f32_e32 v161, v186, v177
	v_fmamk_f32 v177, v134, 0x3f7ee86f, v187
	v_mul_f32_e32 v186, 0xbf59a7d5, v152
	v_fmac_f32_e32 v164, 0x3eb8f4ab, v129
	v_mul_f32_e32 v71, 0xbf59a7d5, v151
	s_delay_alu instid0(VALU_DEP_4) | instskip(NEXT) | instid1(VALU_DEP_4)
	v_add_f32_e32 v161, v177, v161
	v_fmamk_f32 v177, v135, 0x3f06c442, v186
	v_fmac_f32_e32 v162, 0xbf65296c, v131
	s_delay_alu instid0(VALU_DEP_4) | instskip(NEXT) | instid1(VALU_DEP_3)
	v_fmamk_f32 v145, v134, 0x3f06c442, v71
	v_add_f32_e32 v161, v177, v161
	v_fmamk_f32 v177, v133, 0x3f2c7751, v191
	s_delay_alu instid0(VALU_DEP_1) | instskip(NEXT) | instid1(VALU_DEP_1)
	v_add_f32_e32 v177, v53, v177
	v_add_f32_e32 v177, v195, v177
	v_fmamk_f32 v195, v128, 0x3f4c4adb, v196
	s_delay_alu instid0(VALU_DEP_1) | instskip(SKIP_1) | instid1(VALU_DEP_1)
	v_add_f32_e32 v177, v195, v177
	v_fmamk_f32 v195, v129, 0x3e3c28d5, v198
	v_dual_fmac_f32 v184, 0xbeb8f4ab, v132 :: v_dual_add_f32 v177, v195, v177
	v_fmamk_f32 v195, v131, 0xbf06c442, v200
	s_delay_alu instid0(VALU_DEP_1) | instskip(SKIP_2) | instid1(VALU_DEP_2)
	v_dual_fmamk_f32 v160, v136, 0x3ee437d1, v185 :: v_dual_add_f32 v177, v195, v177
	v_fmamk_f32 v195, v132, 0xbf763a35, v202
	v_mul_f32_e32 v188, 0xbf4c4adb, v144
	v_dual_add_f32 v160, v52, v160 :: v_dual_add_f32 v177, v195, v177
	s_delay_alu instid0(VALU_DEP_2) | instskip(SKIP_2) | instid1(VALU_DEP_3)
	v_fmamk_f32 v189, v137, 0xbf1a4643, v188
	v_fmamk_f32 v195, v134, 0xbf65296c, v204
	v_fmac_f32_e32 v176, 0xbf4c4adb, v130
	v_dual_add_f32 v160, v189, v160 :: v_dual_fmamk_f32 v189, v138, 0xbf7ba420, v190
	s_delay_alu instid0(VALU_DEP_3) | instskip(SKIP_2) | instid1(VALU_DEP_4)
	v_add_f32_e32 v177, v195, v177
	v_fmamk_f32 v195, v135, 0xbeb8f4ab, v206
	v_fmac_f32_e32 v178, 0x3e3c28d5, v128
	v_dual_fmac_f32 v191, 0xbf2c7751, v133 :: v_dual_add_f32 v160, v189, v160
	v_fmamk_f32 v189, v139, 0xbe8c1d8e, v192
	s_delay_alu instid0(VALU_DEP_4) | instskip(SKIP_2) | instid1(VALU_DEP_4)
	v_dual_add_f32 v158, v195, v177 :: v_dual_fmamk_f32 v177, v133, 0x3eb8f4ab, v209
	v_mul_f32_e32 v195, 0x3f3d2fb0, v157
	v_fmac_f32_e32 v180, 0x3f763a35, v129
	v_dual_add_f32 v160, v189, v160 :: v_dual_fmamk_f32 v189, v140, 0x3f3d2fb0, v194
	s_delay_alu instid0(VALU_DEP_4) | instskip(NEXT) | instid1(VALU_DEP_4)
	v_add_f32_e32 v177, v53, v177
	v_fmamk_f32 v211, v130, 0x3f2c7751, v195
	v_fmac_f32_e32 v163, 0xbe3c28d5, v130
	s_delay_alu instid0(VALU_DEP_4) | instskip(SKIP_1) | instid1(VALU_DEP_4)
	v_dual_fmac_f32 v193, 0xbf7ee86f, v130 :: v_dual_add_f32 v160, v189, v160
	v_fmamk_f32 v189, v142, 0x3f6eb680, v197
	v_add_f32_e32 v177, v211, v177
	v_fmamk_f32 v211, v128, 0x3f65296c, v156
	v_fmac_f32_e32 v209, 0xbeb8f4ab, v133
	v_fmac_f32_e32 v182, 0x3f2c7751, v131
	v_add_f32_e32 v160, v189, v160
	v_fmamk_f32 v189, v141, 0x3dbcf732, v199
	v_add_f32_e32 v177, v211, v177
	v_fmamk_f32 v211, v129, 0x3f7ee86f, v153
	v_fmac_f32_e32 v195, 0xbf2c7751, v130
	s_delay_alu instid0(VALU_DEP_4) | instskip(SKIP_1) | instid1(VALU_DEP_4)
	v_dual_fmac_f32 v153, 0xbf7ee86f, v129 :: v_dual_add_f32 v160, v189, v160
	v_fmamk_f32 v189, v143, 0xbf59a7d5, v201
	v_add_f32_e32 v177, v211, v177
	v_fmamk_f32 v211, v131, 0x3f763a35, v154
	v_fmac_f32_e32 v186, 0xbf06c442, v135
	v_fmac_f32_e32 v202, 0x3f763a35, v132
	v_dual_add_f32 v160, v189, v160 :: v_dual_fmamk_f32 v189, v136, 0x3f3d2fb0, v203
	s_delay_alu instid0(VALU_DEP_4) | instskip(SKIP_2) | instid1(VALU_DEP_4)
	v_add_f32_e32 v177, v211, v177
	v_fmamk_f32 v211, v132, 0x3f4c4adb, v155
	v_fmac_f32_e32 v155, 0xbf4c4adb, v132
	v_dual_fmac_f32 v206, 0x3eb8f4ab, v135 :: v_dual_add_f32 v189, v52, v189
	s_delay_alu instid0(VALU_DEP_3) | instskip(SKIP_1) | instid1(VALU_DEP_3)
	v_add_f32_e32 v69, v211, v177
	v_fmamk_f32 v177, v136, 0x3f6eb680, v147
	v_dual_add_f32 v189, v207, v189 :: v_dual_fmac_f32 v196, 0xbf4c4adb, v128
	s_delay_alu instid0(VALU_DEP_2) | instskip(NEXT) | instid1(VALU_DEP_1)
	v_add_f32_e32 v144, v52, v177
	v_dual_add_f32 v64, v65, v144 :: v_dual_fmamk_f32 v65, v138, 0x3ee437d1, v70
	s_delay_alu instid0(VALU_DEP_1) | instskip(SKIP_1) | instid1(VALU_DEP_2)
	v_dual_fmamk_f32 v207, v138, 0xbf1a4643, v208 :: v_dual_add_f32 v64, v65, v64
	v_fmamk_f32 v65, v139, 0x3dbcf732, v67
	v_add_f32_e32 v157, v207, v189
	v_fmamk_f32 v189, v139, 0xbf7ba420, v210
	v_dual_mul_f32 v207, 0x3f06c442, v148 :: v_dual_fmac_f32 v200, 0x3f06c442, v131
	s_delay_alu instid0(VALU_DEP_4) | instskip(SKIP_1) | instid1(VALU_DEP_4)
	v_add_f32_e32 v56, v65, v64
	v_dual_mul_f32 v64, 0xbf4c4adb, v149 :: v_dual_add_f32 v55, v57, v55
	v_add_f32_e32 v157, v189, v157
	s_delay_alu instid0(VALU_DEP_4)
	v_fmamk_f32 v189, v140, 0xbf59a7d5, v207
	v_add_f32_e32 v57, v145, v69
	v_fmamk_f32 v65, v135, 0x3e3c28d5, v66
	v_add_f32_e32 v55, v59, v55
	v_mul_f32_e32 v59, 0xbf763a35, v148
	v_add_f32_e32 v157, v189, v157
	v_fmamk_f32 v189, v142, 0xbe8c1d8e, v212
	s_delay_alu instid0(VALU_DEP_4) | instskip(NEXT) | instid1(VALU_DEP_4)
	v_dual_fmac_f32 v204, 0x3f65296c, v134 :: v_dual_add_f32 v55, v77, v55
	v_fmamk_f32 v58, v140, 0xbe8c1d8e, v59
	v_fmac_f32_e32 v198, 0xbe3c28d5, v129
	s_delay_alu instid0(VALU_DEP_4) | instskip(NEXT) | instid1(VALU_DEP_3)
	v_dual_add_f32 v157, v189, v157 :: v_dual_fmac_f32 v156, 0xbf65296c, v128
	v_dual_add_f32 v69, v79, v55 :: v_dual_add_f32 v56, v58, v56
	v_fmamk_f32 v58, v142, 0xbf1a4643, v64
	v_mul_f32_e32 v213, 0x3f65296c, v150
	v_add_f32_e32 v55, v65, v57
	s_delay_alu instid0(VALU_DEP_4) | instskip(NEXT) | instid1(VALU_DEP_4)
	v_add_f32_e32 v57, v73, v69
	v_dual_add_f32 v65, v53, v165 :: v_dual_add_f32 v56, v58, v56
	s_delay_alu instid0(VALU_DEP_4) | instskip(NEXT) | instid1(VALU_DEP_3)
	v_fmamk_f32 v189, v141, 0x3ee437d1, v213
	v_dual_mul_f32 v58, 0xbf06c442, v150 :: v_dual_add_f32 v57, v75, v57
	v_fmac_f32_e32 v154, 0xbf763a35, v131
	s_delay_alu instid0(VALU_DEP_3) | instskip(NEXT) | instid1(VALU_DEP_3)
	v_dual_fmac_f32 v66, 0xbe3c28d5, v135 :: v_dual_add_f32 v157, v189, v157
	v_fmamk_f32 v69, v141, 0xbf59a7d5, v58
	s_delay_alu instid0(VALU_DEP_4) | instskip(SKIP_2) | instid1(VALU_DEP_4)
	v_add_f32_e32 v57, v61, v57
	v_fmamk_f32 v189, v143, 0x3f6eb680, v214
	v_add_f32_e32 v61, v163, v65
	v_dual_fmamk_f32 v65, v143, 0xbf7ba420, v72 :: v_dual_add_f32 v56, v69, v56
	s_delay_alu instid0(VALU_DEP_4) | instskip(NEXT) | instid1(VALU_DEP_4)
	v_add_f32_e32 v57, v63, v57
	v_add_f32_e32 v157, v189, v157
	s_delay_alu instid0(VALU_DEP_4)
	v_add_f32_e32 v61, v166, v61
	v_fma_f32 v63, 0xbf59a7d5, v143, -v201
	v_add_f32_e32 v54, v65, v56
	v_add_f32_e32 v1, v1, v57
	v_fma_f32 v56, 0x3dbcf732, v136, -v168
	v_dual_add_f32 v57, v62, v60 :: v_dual_add_f32 v60, v164, v61
	v_fma_f32 v61, 0xbf1a4643, v137, -v188
	s_delay_alu instid0(VALU_DEP_4) | instskip(NEXT) | instid1(VALU_DEP_4)
	v_add_f32_e32 v1, v3, v1
	v_add_f32_e32 v3, v52, v56
	v_fma_f32 v56, 0xbf7ba420, v137, -v170
	v_dual_add_f32 v0, v0, v57 :: v_dual_add_f32 v57, v162, v60
	v_fma_f32 v60, 0x3ee437d1, v136, -v185
	v_fma_f32 v62, 0xbf1a4643, v141, -v181
	s_delay_alu instid0(VALU_DEP_4)
	v_add_f32_e32 v3, v56, v3
	v_fma_f32 v56, 0xbe8c1d8e, v138, -v172
	v_add_f32_e32 v0, v2, v0
	v_add_f32_e32 v2, v167, v57
	;; [unrolled: 1-line block ×3, first 2 shown]
	v_fma_f32 v58, 0xbf59a7d5, v141, -v58
	v_add_f32_e32 v3, v56, v3
	v_fma_f32 v56, 0x3f6eb680, v139, -v175
	v_add_f32_e32 v2, v169, v2
	v_add_f32_e32 v60, v61, v60
	v_fma_f32 v61, 0xbf7ba420, v138, -v190
	v_fmac_f32_e32 v71, 0xbf06c442, v134
	v_add_f32_e32 v3, v56, v3
	v_fma_f32 v56, 0x3ee437d1, v140, -v174
	s_delay_alu instid0(VALU_DEP_1) | instskip(SKIP_1) | instid1(VALU_DEP_1)
	v_dual_add_f32 v0, v81, v0 :: v_dual_add_f32 v3, v56, v3
	v_fma_f32 v56, 0xbf59a7d5, v142, -v179
	v_dual_add_f32 v56, v56, v3 :: v_dual_add_f32 v3, v171, v2
	v_fma_f32 v59, 0xbe8c1d8e, v140, -v59
	s_delay_alu instid0(VALU_DEP_2) | instskip(SKIP_4) | instid1(VALU_DEP_3)
	v_add_f32_e32 v2, v62, v56
	v_add_f32_e32 v56, v61, v60
	v_fma_f32 v60, 0xbe8c1d8e, v139, -v192
	v_fma_f32 v61, 0x3f3d2fb0, v143, -v183
	v_add_f32_e32 v62, v53, v191
	v_add_f32_e32 v56, v60, v56
	v_fma_f32 v60, 0x3f3d2fb0, v140, -v194
	s_delay_alu instid0(VALU_DEP_4) | instskip(NEXT) | instid1(VALU_DEP_4)
	v_add_f32_e32 v2, v61, v2
	v_add_f32_e32 v61, v193, v62
	v_fma_f32 v62, 0x3f3d2fb0, v136, -v203
	s_delay_alu instid0(VALU_DEP_4) | instskip(SKIP_1) | instid1(VALU_DEP_4)
	v_add_f32_e32 v56, v60, v56
	v_fma_f32 v60, 0x3f6eb680, v142, -v197
	v_add_f32_e32 v61, v196, v61
	s_delay_alu instid0(VALU_DEP_2) | instskip(SKIP_1) | instid1(VALU_DEP_1)
	v_add_f32_e32 v56, v60, v56
	v_fma_f32 v60, 0x3dbcf732, v141, -v199
	v_add_f32_e32 v56, v60, v56
	v_add_f32_e32 v60, v52, v62
	v_fma_f32 v62, 0x3dbcf732, v137, -v205
	s_delay_alu instid0(VALU_DEP_3) | instskip(SKIP_1) | instid1(VALU_DEP_3)
	v_add_f32_e32 v56, v63, v56
	v_fma_f32 v63, 0x3f6eb680, v136, -v147
	v_add_f32_e32 v60, v62, v60
	v_fma_f32 v62, 0xbf1a4643, v138, -v208
	s_delay_alu instid0(VALU_DEP_3) | instskip(SKIP_1) | instid1(VALU_DEP_3)
	v_dual_add_f32 v1, v82, v1 :: v_dual_add_f32 v52, v52, v63
	v_fma_f32 v63, 0xbf59a7d5, v140, -v207
	v_add_f32_e32 v60, v62, v60
	v_fma_f32 v62, 0xbf7ba420, v139, -v210
	s_delay_alu instid0(VALU_DEP_1) | instskip(SKIP_1) | instid1(VALU_DEP_2)
	v_dual_fmac_f32 v173, 0xbf65296c, v133 :: v_dual_add_f32 v60, v62, v60
	v_fma_f32 v62, 0x3f3d2fb0, v137, -v68
	v_add_f32_e32 v57, v53, v173
	s_delay_alu instid0(VALU_DEP_3) | instskip(NEXT) | instid1(VALU_DEP_2)
	v_dual_add_f32 v53, v53, v209 :: v_dual_add_f32 v60, v63, v60
	v_dual_add_f32 v52, v62, v52 :: v_dual_add_f32 v57, v176, v57
	v_fma_f32 v62, 0x3ee437d1, v138, -v70
	s_delay_alu instid0(VALU_DEP_3) | instskip(SKIP_1) | instid1(VALU_DEP_4)
	v_add_f32_e32 v53, v195, v53
	v_fma_f32 v63, 0xbe8c1d8e, v142, -v212
	v_add_f32_e32 v57, v178, v57
	s_delay_alu instid0(VALU_DEP_4) | instskip(SKIP_1) | instid1(VALU_DEP_4)
	v_add_f32_e32 v52, v62, v52
	v_fma_f32 v62, 0x3dbcf732, v139, -v67
	v_dual_add_f32 v53, v156, v53 :: v_dual_add_f32 v60, v63, v60
	s_delay_alu instid0(VALU_DEP_2) | instskip(NEXT) | instid1(VALU_DEP_2)
	v_dual_add_f32 v57, v180, v57 :: v_dual_add_f32 v52, v62, v52
	v_add_f32_e32 v53, v153, v53
	v_fma_f32 v62, 0x3ee437d1, v141, -v213
	s_delay_alu instid0(VALU_DEP_3)
	v_dual_add_f32 v57, v182, v57 :: v_dual_add_f32 v52, v59, v52
	v_fma_f32 v59, 0xbf1a4643, v142, -v64
	v_fma_f32 v64, 0xbf7ba420, v143, -v72
	v_add_f32_e32 v53, v154, v53
	v_add_f32_e32 v60, v62, v60
	v_mul_lo_u16 v62, v116, 17
	v_dual_add_f32 v52, v59, v52 :: v_dual_fmac_f32 v187, 0xbf7ee86f, v134
	v_add_f32_e32 v57, v184, v57
	s_delay_alu instid0(VALU_DEP_3) | instskip(NEXT) | instid1(VALU_DEP_3)
	v_dual_add_f32 v53, v155, v53 :: v_dual_and_b32 v62, 0xffff, v62
	v_add_f32_e32 v58, v58, v52
	v_add_f32_e32 v61, v198, v61
	s_delay_alu instid0(VALU_DEP_4) | instskip(SKIP_1) | instid1(VALU_DEP_4)
	v_add_f32_e32 v57, v187, v57
	v_fma_f32 v59, 0x3f6eb680, v143, -v214
	v_dual_add_f32 v63, v71, v53 :: v_dual_add_f32 v58, v64, v58
	s_delay_alu instid0(VALU_DEP_4) | instskip(NEXT) | instid1(VALU_DEP_3)
	v_dual_add_f32 v61, v200, v61 :: v_dual_lshlrev_b32 v62, 3, v62
	v_dual_add_f32 v57, v186, v57 :: v_dual_add_f32 v52, v59, v60
	s_delay_alu instid0(VALU_DEP_3) | instskip(NEXT) | instid1(VALU_DEP_3)
	v_add_f32_e32 v59, v66, v63
	v_add_f32_e32 v61, v202, v61
	s_delay_alu instid0(VALU_DEP_1) | instskip(NEXT) | instid1(VALU_DEP_1)
	v_add_f32_e32 v61, v204, v61
	v_add_f32_e32 v53, v206, v61
	ds_store_2addr_b64 v62, v[0:1], v[54:55] offset1:1
	ds_store_2addr_b64 v62, v[157:158], v[160:161] offset0:2 offset1:3
	ds_store_2addr_b64 v62, v[113:114], v[111:112] offset0:4 offset1:5
	;; [unrolled: 1-line block ×7, first 2 shown]
	ds_store_b64 v62, v[58:59] offset:128
.LBB0_13:
	s_or_b32 exec_lo, exec_lo, s0
	v_add_nc_u32_e32 v0, 0x1400, v117
	v_add_nc_u32_e32 v1, 0x1c00, v117
	;; [unrolled: 1-line block ×3, first 2 shown]
	s_waitcnt lgkmcnt(0)
	s_barrier
	buffer_gl0_inv
	ds_load_2addr_b64 v[54:57], v0 offset0:74 offset1:193
	ds_load_2addr_b64 v[58:61], v1 offset0:56 offset1:175
	;; [unrolled: 1-line block ×3, first 2 shown]
	v_add_nc_u32_e32 v3, 0x2c00, v117
	v_add_nc_u32_e32 v53, 0xc00, v117
	s_waitcnt lgkmcnt(1)
	v_mul_f32_e32 v81, v94, v59
	v_mul_f32_e32 v79, v90, v56
	;; [unrolled: 1-line block ×4, first 2 shown]
	s_delay_alu instid0(VALU_DEP_4) | instskip(NEXT) | instid1(VALU_DEP_3)
	v_dual_fmac_f32 v81, v93, v58 :: v_dual_add_nc_u32 v52, 0x400, v117
	v_fma_f32 v59, v93, v59, -v82
	v_mul_f32_e32 v78, v90, v57
	v_fma_f32 v57, v89, v57, -v79
	v_fma_f32 v79, v95, v61, -v94
	v_mul_f32_e32 v90, v96, v61
	s_waitcnt lgkmcnt(0)
	v_mul_f32_e32 v96, v92, v63
	ds_load_2addr_b64 v[66:69], v117 offset1:119
	ds_load_2addr_b64 v[70:73], v52 offset0:110 offset1:229
	ds_load_2addr_b64 v[74:77], v3 offset0:20 offset1:139
	;; [unrolled: 1-line block ×3, first 2 shown]
	v_mul_f32_e32 v82, v88, v65
	v_mul_f32_e32 v92, v92, v62
	s_waitcnt lgkmcnt(0)
	s_barrier
	buffer_gl0_inv
	v_dual_fmac_f32 v82, v87, v64 :: v_dual_sub_f32 v59, v69, v59
	v_fmac_f32_e32 v78, v89, v56
	v_mul_f32_e32 v56, v88, v64
	v_mul_f32_e32 v58, v86, v74
	;; [unrolled: 1-line block ×4, first 2 shown]
	v_sub_f32_e32 v57, v67, v57
	v_fma_f32 v87, v87, v65, -v56
	v_sub_f32_e32 v65, v71, v79
	v_fma_f32 v89, v91, v63, -v92
	v_fmac_f32_e32 v90, v95, v60
	v_mul_f32_e32 v60, v84, v76
	v_fma_f32 v75, v85, v75, -v58
	v_fmac_f32_e32 v96, v91, v62
	v_fma_f32 v63, v69, 2.0, -v59
	v_fma_f32 v69, v71, 2.0, -v65
	v_sub_f32_e32 v71, v98, v87
	v_sub_f32_e32 v56, v66, v78
	v_fmac_f32_e32 v86, v83, v76
	v_sub_f32_e32 v58, v68, v81
	v_fma_f32 v81, v83, v77, -v60
	v_fma_f32 v61, v67, 2.0, -v57
	v_dual_sub_f32 v67, v73, v89 :: v_dual_sub_f32 v64, v70, v90
	v_fmac_f32_e32 v88, v85, v74
	v_fma_f32 v60, v66, 2.0, -v56
	v_sub_f32_e32 v77, v100, v75
	v_sub_f32_e32 v66, v72, v96
	v_fma_f32 v62, v68, 2.0, -v58
	v_fma_f32 v68, v70, 2.0, -v64
	v_sub_f32_e32 v70, v97, v82
	v_dual_sub_f32 v78, v54, v86 :: v_dual_sub_f32 v79, v55, v81
	v_sub_f32_e32 v76, v99, v88
	v_fma_f32 v72, v72, 2.0, -v66
	v_fma_f32 v73, v73, 2.0, -v67
	;; [unrolled: 1-line block ×8, first 2 shown]
	ds_store_2addr_b64 v121, v[60:61], v[56:57] offset1:17
	ds_store_2addr_b64 v123, v[62:63], v[58:59] offset1:17
	;; [unrolled: 1-line block ×7, first 2 shown]
	s_waitcnt lgkmcnt(0)
	s_barrier
	buffer_gl0_inv
	ds_load_2addr_b64 v[54:57], v52 offset0:110 offset1:229
	ds_load_2addr_b64 v[58:61], v53 offset0:92 offset1:211
	;; [unrolled: 1-line block ×6, first 2 shown]
	ds_load_2addr_b64 v[81:84], v117 offset1:119
	s_waitcnt lgkmcnt(0)
	s_barrier
	buffer_gl0_inv
	v_mul_f32_e32 v78, v25, v55
	v_mul_f32_e32 v25, v25, v54
	;; [unrolled: 1-line block ×4, first 2 shown]
	s_delay_alu instid0(VALU_DEP_4) | instskip(NEXT) | instid1(VALU_DEP_4)
	v_fmac_f32_e32 v78, v24, v54
	v_fma_f32 v24, v24, v55, -v25
	s_delay_alu instid0(VALU_DEP_4) | instskip(NEXT) | instid1(VALU_DEP_4)
	v_fmac_f32_e32 v79, v26, v58
	v_fma_f32 v25, v26, v59, -v27
	v_mul_f32_e32 v27, v23, v67
	v_mul_f32_e32 v23, v23, v66
	;; [unrolled: 1-line block ×6, first 2 shown]
	v_dual_mul_f32 v54, v17, v71 :: v_dual_fmac_f32 v27, v22, v66
	v_mul_f32_e32 v17, v17, v70
	v_fmac_f32_e32 v55, v8, v64
	v_dual_fmac_f32 v26, v20, v62 :: v_dual_mul_f32 v59, v5, v73
	v_fma_f32 v20, v20, v63, -v21
	v_fma_f32 v21, v22, v67, -v23
	v_mul_f32_e32 v22, v19, v75
	v_mul_f32_e32 v19, v19, v74
	v_fmac_f32_e32 v59, v4, v72
	v_dual_fmac_f32 v54, v16, v70 :: v_dual_mul_f32 v5, v5, v72
	v_mul_f32_e32 v23, v13, v57
	v_mul_f32_e32 v13, v13, v56
	v_fma_f32 v16, v16, v71, -v17
	v_fma_f32 v17, v18, v75, -v19
	v_dual_mul_f32 v19, v15, v61 :: v_dual_fmac_f32 v22, v18, v74
	v_fmac_f32_e32 v23, v12, v56
	v_fma_f32 v18, v12, v57, -v13
	v_mul_f32_e32 v12, v15, v60
	s_delay_alu instid0(VALU_DEP_4)
	v_dual_mul_f32 v56, v11, v69 :: v_dual_fmac_f32 v19, v14, v60
	v_fma_f32 v58, v8, v65, -v9
	v_dual_add_f32 v9, v25, v16 :: v_dual_mul_f32 v60, v7, v77
	v_mul_f32_e32 v7, v7, v76
	v_fma_f32 v62, v4, v73, -v5
	v_dual_add_f32 v5, v24, v17 :: v_dual_mul_f32 v8, v11, v68
	v_dual_fmac_f32 v56, v10, v68 :: v_dual_add_f32 v13, v20, v21
	s_delay_alu instid0(VALU_DEP_4)
	v_fma_f32 v63, v6, v77, -v7
	v_dual_add_f32 v4, v78, v22 :: v_dual_sub_f32 v15, v21, v20
	v_sub_f32_e32 v7, v24, v17
	v_fma_f32 v57, v14, v61, -v12
	v_sub_f32_e32 v11, v25, v16
	v_add_f32_e32 v17, v9, v5
	v_fma_f32 v61, v10, v69, -v8
	v_add_f32_e32 v8, v79, v54
	v_dual_fmac_f32 v60, v6, v76 :: v_dual_sub_f32 v21, v9, v5
	v_dual_sub_f32 v6, v78, v22 :: v_dual_sub_f32 v9, v13, v9
	v_sub_f32_e32 v24, v5, v13
	v_add_f32_e32 v12, v26, v27
	v_add_f32_e32 v5, v15, v11
	v_dual_sub_f32 v10, v79, v54 :: v_dual_add_f32 v13, v13, v17
	v_sub_f32_e32 v14, v27, v26
	v_add_f32_e32 v16, v8, v4
	v_sub_f32_e32 v26, v15, v11
	v_sub_f32_e32 v15, v7, v15
	;; [unrolled: 1-line block ×3, first 2 shown]
	v_add_f32_e32 v7, v5, v7
	v_dual_add_f32 v5, v82, v13 :: v_dual_sub_f32 v20, v8, v4
	v_sub_f32_e32 v25, v14, v10
	v_mul_f32_e32 v17, 0x3f4a47b2, v24
	v_sub_f32_e32 v22, v4, v12
	s_delay_alu instid0(VALU_DEP_4) | instskip(SKIP_4) | instid1(VALU_DEP_4)
	v_dual_add_f32 v4, v14, v10 :: v_dual_fmamk_f32 v13, v13, 0xbf955555, v5
	v_sub_f32_e32 v10, v10, v6
	v_dual_sub_f32 v8, v12, v8 :: v_dual_mul_f32 v25, 0x3f08b237, v25
	v_sub_f32_e32 v14, v6, v14
	v_mul_f32_e32 v24, 0x3d64c772, v9
	v_mul_f32_e32 v27, 0xbf5ff5aa, v10
	v_fmamk_f32 v9, v9, 0x3d64c772, v17
	v_fma_f32 v17, 0xbf3bfb3b, v21, -v17
	v_add_f32_e32 v12, v12, v16
	v_mul_f32_e32 v26, 0x3f08b237, v26
	v_fma_f32 v27, 0x3eae86e6, v14, -v27
	v_add_f32_e32 v64, v9, v13
	v_dual_mul_f32 v16, 0x3f4a47b2, v22 :: v_dual_add_f32 v17, v17, v13
	v_mul_f32_e32 v22, 0x3d64c772, v8
	v_fma_f32 v24, 0x3f3bfb3b, v21, -v24
	v_fmamk_f32 v21, v15, 0xbeae86e6, v26
	v_mul_f32_e32 v54, 0xbf5ff5aa, v11
	v_fmamk_f32 v8, v8, 0x3d64c772, v16
	v_fma_f32 v22, 0x3f3bfb3b, v20, -v22
	v_add_f32_e32 v6, v4, v6
	v_dual_add_f32 v4, v81, v12 :: v_dual_fmac_f32 v21, 0xbee1c552, v7
	v_fma_f32 v16, 0xbf3bfb3b, v20, -v16
	v_fmamk_f32 v20, v14, 0xbeae86e6, v25
	v_fma_f32 v25, 0xbf5ff5aa, v10, -v25
	s_delay_alu instid0(VALU_DEP_4) | instskip(SKIP_1) | instid1(VALU_DEP_2)
	v_fmamk_f32 v12, v12, 0xbf955555, v4
	v_fma_f32 v14, 0x3eae86e6, v15, -v54
	v_add_f32_e32 v15, v22, v12
	s_delay_alu instid0(VALU_DEP_4) | instskip(SKIP_3) | instid1(VALU_DEP_3)
	v_dual_add_f32 v54, v8, v12 :: v_dual_fmac_f32 v25, 0xbee1c552, v6
	v_add_f32_e32 v22, v24, v13
	v_dual_add_f32 v16, v16, v12 :: v_dual_fmac_f32 v27, 0xbee1c552, v6
	v_add_f32_e32 v24, v57, v62
	v_dual_fmac_f32 v20, 0xbee1c552, v6 :: v_dual_sub_f32 v13, v22, v25
	v_fma_f32 v26, 0xbf5ff5aa, v11, -v26
	v_fmac_f32_e32 v14, 0xbee1c552, v7
	v_add_f32_e32 v6, v21, v54
	v_sub_f32_e32 v9, v17, v27
	s_delay_alu instid0(VALU_DEP_4) | instskip(SKIP_1) | instid1(VALU_DEP_2)
	v_dual_add_f32 v11, v25, v22 :: v_dual_fmac_f32 v26, 0xbee1c552, v7
	v_dual_sub_f32 v25, v57, v62 :: v_dual_sub_f32 v22, v23, v60
	v_sub_f32_e32 v10, v15, v26
	v_dual_add_f32 v12, v26, v15 :: v_dual_add_f32 v15, v27, v17
	v_add_f32_e32 v27, v58, v61
	v_add_f32_e32 v8, v14, v16
	v_sub_f32_e32 v14, v16, v14
	v_sub_f32_e32 v16, v54, v21
	v_dual_add_f32 v21, v18, v63 :: v_dual_add_f32 v26, v55, v56
	v_dual_sub_f32 v54, v56, v55 :: v_dual_sub_f32 v55, v61, v58
	s_delay_alu instid0(VALU_DEP_2)
	v_add_f32_e32 v57, v24, v21
	v_sub_f32_e32 v7, v64, v20
	v_dual_add_f32 v17, v20, v64 :: v_dual_sub_f32 v18, v18, v63
	v_add_f32_e32 v20, v23, v60
	v_add_f32_e32 v23, v19, v59
	v_sub_f32_e32 v19, v19, v59
	v_sub_f32_e32 v59, v24, v21
	;; [unrolled: 1-line block ×3, first 2 shown]
	v_add_f32_e32 v61, v55, v25
	v_sub_f32_e32 v63, v55, v25
	s_delay_alu instid0(VALU_DEP_3)
	v_dual_sub_f32 v64, v19, v22 :: v_dual_mul_f32 v21, 0x3f4a47b2, v21
	v_sub_f32_e32 v24, v27, v24
	v_add_f32_e32 v27, v27, v57
	v_dual_sub_f32 v55, v18, v55 :: v_dual_sub_f32 v58, v23, v20
	v_dual_sub_f32 v25, v25, v18 :: v_dual_add_f32 v56, v23, v20
	v_sub_f32_e32 v23, v26, v23
	s_delay_alu instid0(VALU_DEP_2) | instskip(NEXT) | instid1(VALU_DEP_2)
	v_dual_sub_f32 v62, v54, v19 :: v_dual_mul_f32 v65, 0xbf5ff5aa, v25
	v_dual_mul_f32 v57, 0x3d64c772, v23 :: v_dual_sub_f32 v20, v20, v26
	s_delay_alu instid0(VALU_DEP_4) | instskip(SKIP_1) | instid1(VALU_DEP_4)
	v_add_f32_e32 v26, v26, v56
	v_add_f32_e32 v56, v61, v18
	v_dual_mul_f32 v61, 0x3f08b237, v62 :: v_dual_add_f32 v60, v54, v19
	s_delay_alu instid0(VALU_DEP_3) | instskip(SKIP_2) | instid1(VALU_DEP_3)
	v_dual_add_f32 v19, v84, v27 :: v_dual_add_f32 v18, v83, v26
	v_mul_f32_e32 v62, 0x3f08b237, v63
	v_dual_sub_f32 v54, v22, v54 :: v_dual_mul_f32 v63, 0xbf5ff5aa, v64
	v_dual_fmamk_f32 v27, v27, 0xbf955555, v19 :: v_dual_add_f32 v22, v60, v22
	v_mul_f32_e32 v60, 0x3d64c772, v24
	v_mul_f32_e32 v20, 0x3f4a47b2, v20
	v_fmamk_f32 v26, v26, 0xbf955555, v18
	v_fmamk_f32 v24, v24, 0x3d64c772, v21
	v_fma_f32 v57, 0x3f3bfb3b, v58, -v57
	v_fma_f32 v60, 0x3f3bfb3b, v59, -v60
	;; [unrolled: 1-line block ×3, first 2 shown]
	v_fmamk_f32 v59, v55, 0xbeae86e6, v62
	v_fma_f32 v63, 0x3eae86e6, v54, -v63
	v_fmamk_f32 v23, v23, 0x3d64c772, v20
	v_fma_f32 v20, 0xbf3bfb3b, v58, -v20
	;; [unrolled: 2-line block ×3, first 2 shown]
	v_fma_f32 v54, 0x3eae86e6, v55, -v65
	v_add_f32_e32 v55, v57, v26
	v_add_f32_e32 v57, v60, v27
	v_fma_f32 v61, 0xbf5ff5aa, v64, -v61
	v_dual_fmac_f32 v59, 0xbee1c552, v56 :: v_dual_add_f32 v66, v21, v27
	v_fmac_f32_e32 v63, 0xbee1c552, v22
	v_dual_add_f32 v64, v23, v26 :: v_dual_add_f32 v65, v24, v27
	v_add_f32_e32 v60, v20, v26
	v_fmac_f32_e32 v58, 0xbee1c552, v22
	v_fmac_f32_e32 v61, 0xbee1c552, v22
	v_dual_sub_f32 v23, v66, v63 :: v_dual_fmac_f32 v54, 0xbee1c552, v56
	v_fmac_f32_e32 v62, 0xbee1c552, v56
	s_delay_alu instid0(VALU_DEP_4) | instskip(NEXT) | instid1(VALU_DEP_3)
	v_dual_add_f32 v20, v59, v64 :: v_dual_sub_f32 v21, v65, v58
	v_dual_add_f32 v25, v61, v57 :: v_dual_add_f32 v22, v54, v60
	s_delay_alu instid0(VALU_DEP_3)
	v_sub_f32_e32 v24, v55, v62
	v_dual_add_f32 v26, v62, v55 :: v_dual_sub_f32 v27, v57, v61
	v_sub_f32_e32 v54, v60, v54
	v_dual_add_f32 v55, v63, v66 :: v_dual_sub_f32 v56, v64, v59
	v_add_f32_e32 v57, v58, v65
	ds_store_2addr_b64 v127, v[4:5], v[6:7] offset1:34
	ds_store_2addr_b64 v127, v[8:9], v[10:11] offset0:68 offset1:102
	ds_store_2addr_b64 v127, v[12:13], v[14:15] offset0:136 offset1:170
	ds_store_b64 v127, v[16:17] offset:1632
	ds_store_2addr_b64 v126, v[18:19], v[20:21] offset1:34
	ds_store_2addr_b64 v126, v[22:23], v[24:25] offset0:68 offset1:102
	ds_store_2addr_b64 v126, v[26:27], v[54:55] offset0:136 offset1:170
	ds_store_b64 v126, v[56:57] offset:1632
	s_waitcnt lgkmcnt(0)
	s_barrier
	buffer_gl0_inv
	ds_load_2addr_b64 v[4:7], v52 offset0:110 offset1:229
	ds_load_2addr_b64 v[8:11], v53 offset0:92 offset1:211
	;; [unrolled: 1-line block ×6, first 2 shown]
	ds_load_2addr_b64 v[54:57], v117 offset1:119
	s_waitcnt lgkmcnt(6)
	v_mul_f32_e32 v58, v45, v5
	v_mul_f32_e32 v45, v45, v4
	s_waitcnt lgkmcnt(5)
	v_mul_f32_e32 v59, v47, v9
	v_mul_f32_e32 v47, v47, v8
	v_fmac_f32_e32 v58, v44, v4
	v_fma_f32 v4, v44, v5, -v45
	s_delay_alu instid0(VALU_DEP_4) | instskip(NEXT) | instid1(VALU_DEP_4)
	v_fmac_f32_e32 v59, v46, v8
	v_fma_f32 v5, v46, v9, -v47
	s_waitcnt lgkmcnt(4)
	v_mul_f32_e32 v8, v37, v13
	v_mul_f32_e32 v9, v37, v12
	s_waitcnt lgkmcnt(3)
	v_mul_f32_e32 v37, v39, v17
	s_waitcnt lgkmcnt(2)
	v_dual_mul_f32 v39, v39, v16 :: v_dual_mul_f32 v44, v49, v21
	v_fmac_f32_e32 v8, v36, v12
	v_fma_f32 v9, v36, v13, -v9
	v_mul_f32_e32 v13, v49, v20
	s_delay_alu instid0(VALU_DEP_4)
	v_fma_f32 v12, v38, v17, -v39
	s_waitcnt lgkmcnt(1)
	v_mul_f32_e32 v17, v51, v24
	v_dual_fmac_f32 v37, v38, v16 :: v_dual_mul_f32 v16, v51, v25
	v_fma_f32 v13, v48, v21, -v13
	v_fmac_f32_e32 v44, v48, v20
	v_mul_f32_e32 v36, v41, v6
	v_fma_f32 v17, v50, v25, -v17
	v_mul_f32_e32 v20, v41, v7
	v_mul_f32_e32 v25, v33, v15
	s_delay_alu instid0(VALU_DEP_4) | instskip(SKIP_2) | instid1(VALU_DEP_4)
	v_fma_f32 v21, v40, v7, -v36
	v_mul_f32_e32 v7, v33, v14
	v_mul_f32_e32 v33, v35, v19
	v_dual_fmac_f32 v25, v32, v14 :: v_dual_add_f32 v14, v5, v13
	v_dual_sub_f32 v5, v5, v13 :: v_dual_fmac_f32 v20, v40, v6
	v_mul_f32_e32 v6, v43, v10
	v_fma_f32 v32, v32, v15, -v7
	v_fmac_f32_e32 v33, v34, v18
	v_mul_f32_e32 v7, v29, v22
	v_sub_f32_e32 v15, v59, v44
	v_fma_f32 v36, v42, v11, -v6
	v_mul_f32_e32 v6, v35, v18
	v_dual_mul_f32 v18, v29, v23 :: v_dual_add_f32 v13, v8, v37
	v_dual_sub_f32 v8, v37, v8 :: v_dual_mul_f32 v29, v31, v27
	s_delay_alu instid0(VALU_DEP_3) | instskip(NEXT) | instid1(VALU_DEP_3)
	v_fma_f32 v19, v34, v19, -v6
	v_fmac_f32_e32 v18, v28, v22
	v_fma_f32 v22, v28, v23, -v7
	v_add_f32_e32 v7, v4, v17
	v_sub_f32_e32 v4, v4, v17
	v_dual_add_f32 v28, v8, v15 :: v_dual_fmac_f32 v29, v30, v26
	s_delay_alu instid0(VALU_DEP_3) | instskip(SKIP_2) | instid1(VALU_DEP_1)
	v_add_f32_e32 v17, v14, v7
	v_fmac_f32_e32 v16, v50, v24
	v_mul_f32_e32 v24, v43, v11
	v_dual_add_f32 v11, v59, v44 :: v_dual_fmac_f32 v24, v42, v10
	v_dual_mul_f32 v10, v31, v26 :: v_dual_sub_f32 v31, v8, v15
	s_delay_alu instid0(VALU_DEP_1)
	v_fma_f32 v23, v30, v27, -v10
	v_sub_f32_e32 v10, v58, v16
	v_add_f32_e32 v6, v58, v16
	v_dual_add_f32 v16, v9, v12 :: v_dual_sub_f32 v9, v12, v9
	v_mul_f32_e32 v31, 0x3f08b237, v31
	v_sub_f32_e32 v27, v14, v7
	v_sub_f32_e32 v15, v15, v10
	v_add_f32_e32 v12, v11, v6
	v_dual_sub_f32 v7, v7, v16 :: v_dual_sub_f32 v34, v9, v5
	v_dual_sub_f32 v26, v11, v6 :: v_dual_sub_f32 v11, v13, v11
	s_delay_alu instid0(VALU_DEP_2) | instskip(NEXT) | instid1(VALU_DEP_3)
	v_dual_add_f32 v12, v13, v12 :: v_dual_mul_f32 v7, 0x3f4a47b2, v7
	v_mul_f32_e32 v34, 0x3f08b237, v34
	v_mul_f32_e32 v35, 0xbf5ff5aa, v15
	v_fma_f32 v15, 0xbf5ff5aa, v15, -v31
	v_add_f32_e32 v30, v9, v5
	v_sub_f32_e32 v9, v4, v9
	v_sub_f32_e32 v6, v6, v13
	v_add_f32_e32 v13, v16, v17
	v_sub_f32_e32 v14, v16, v14
	v_sub_f32_e32 v8, v10, v8
	;; [unrolled: 1-line block ×3, first 2 shown]
	s_waitcnt lgkmcnt(0)
	v_dual_add_f32 v10, v28, v10 :: v_dual_add_f32 v5, v55, v13
	s_delay_alu instid0(VALU_DEP_2) | instskip(NEXT) | instid1(VALU_DEP_2)
	v_mul_f32_e32 v37, 0xbf5ff5aa, v16
	v_fmac_f32_e32 v15, 0xbee1c552, v10
	v_dual_add_f32 v17, v30, v4 :: v_dual_mul_f32 v30, 0x3d64c772, v14
	s_delay_alu instid0(VALU_DEP_4)
	v_fmamk_f32 v13, v13, 0xbf955555, v5
	v_fmamk_f32 v14, v14, 0x3d64c772, v7
	v_fma_f32 v7, 0xbf3bfb3b, v27, -v7
	v_fma_f32 v16, 0xbf5ff5aa, v16, -v34
	;; [unrolled: 1-line block ×3, first 2 shown]
	v_fmamk_f32 v27, v9, 0xbeae86e6, v34
	v_fma_f32 v34, 0x3eae86e6, v9, -v37
	v_add_f32_e32 v37, v14, v13
	v_add_f32_e32 v4, v54, v12
	v_add_f32_e32 v38, v7, v13
	v_mul_f32_e32 v28, 0x3d64c772, v11
	v_fmac_f32_e32 v27, 0xbee1c552, v17
	s_delay_alu instid0(VALU_DEP_4) | instskip(NEXT) | instid1(VALU_DEP_3)
	v_fmamk_f32 v12, v12, 0xbf955555, v4
	v_fma_f32 v28, 0x3f3bfb3b, v26, -v28
	s_delay_alu instid0(VALU_DEP_1) | instskip(SKIP_1) | instid1(VALU_DEP_1)
	v_add_f32_e32 v14, v28, v12
	v_add_f32_e32 v28, v30, v13
	v_dual_mul_f32 v6, 0x3f4a47b2, v6 :: v_dual_sub_f32 v13, v28, v15
	s_delay_alu instid0(VALU_DEP_1) | instskip(SKIP_3) | instid1(VALU_DEP_4)
	v_fmamk_f32 v11, v11, 0x3d64c772, v6
	v_fma_f32 v6, 0xbf3bfb3b, v26, -v6
	v_fmamk_f32 v26, v8, 0xbeae86e6, v31
	v_fma_f32 v31, 0x3eae86e6, v8, -v35
	v_add_f32_e32 v35, v11, v12
	s_delay_alu instid0(VALU_DEP_3)
	v_dual_add_f32 v11, v15, v28 :: v_dual_fmac_f32 v26, 0xbee1c552, v10
	v_add_f32_e32 v28, v36, v22
	v_sub_f32_e32 v22, v36, v22
	v_fmac_f32_e32 v16, 0xbee1c552, v17
	v_dual_add_f32 v30, v6, v12 :: v_dual_fmac_f32 v31, 0xbee1c552, v10
	v_dual_add_f32 v6, v27, v35 :: v_dual_sub_f32 v7, v37, v26
	s_delay_alu instid0(VALU_DEP_3)
	v_sub_f32_e32 v10, v14, v16
	v_add_f32_e32 v12, v16, v14
	v_sub_f32_e32 v16, v35, v27
	v_add_f32_e32 v27, v21, v23
	;; [unrolled: 2-line block ×4, first 2 shown]
	v_fmac_f32_e32 v34, 0xbee1c552, v17
	v_add_f32_e32 v17, v26, v37
	v_add_f32_e32 v26, v20, v29
	v_sub_f32_e32 v20, v20, v29
	v_add_f32_e32 v29, v32, v19
	v_sub_f32_e32 v25, v33, v25
	v_sub_f32_e32 v19, v19, v32
	;; [unrolled: 1-line block ×4, first 2 shown]
	v_add_f32_e32 v15, v31, v38
	v_add_f32_e32 v31, v28, v27
	v_dual_sub_f32 v27, v27, v29 :: v_dual_add_f32 v8, v34, v30
	v_add_f32_e32 v35, v19, v22
	v_sub_f32_e32 v14, v30, v34
	v_sub_f32_e32 v38, v21, v19
	s_delay_alu instid0(VALU_DEP_4) | instskip(SKIP_2) | instid1(VALU_DEP_3)
	v_dual_mul_f32 v27, 0x3f4a47b2, v27 :: v_dual_add_f32 v30, v23, v26
	v_sub_f32_e32 v32, v23, v26
	v_dual_sub_f32 v26, v26, v24 :: v_dual_sub_f32 v23, v24, v23
	v_add_f32_e32 v24, v24, v30
	s_delay_alu instid0(VALU_DEP_2) | instskip(NEXT) | instid1(VALU_DEP_1)
	v_mul_f32_e32 v26, 0x3f4a47b2, v26
	v_dual_mul_f32 v30, 0x3d64c772, v23 :: v_dual_fmamk_f32 v23, v23, 0x3d64c772, v26
	v_dual_sub_f32 v37, v19, v22 :: v_dual_sub_f32 v22, v22, v21
	v_add_f32_e32 v21, v35, v21
	v_fma_f32 v26, 0xbf3bfb3b, v32, -v26
	s_delay_alu instid0(VALU_DEP_4) | instskip(NEXT) | instid1(VALU_DEP_4)
	v_fma_f32 v30, 0x3f3bfb3b, v32, -v30
	v_dual_mul_f32 v35, 0x3f08b237, v37 :: v_dual_sub_f32 v28, v29, v28
	v_add_f32_e32 v29, v29, v31
	v_mul_f32_e32 v37, 0xbf5ff5aa, v22
	s_delay_alu instid0(VALU_DEP_3) | instskip(NEXT) | instid1(VALU_DEP_3)
	v_mul_f32_e32 v31, 0x3d64c772, v28
	v_dual_add_f32 v19, v57, v29 :: v_dual_fmamk_f32 v28, v28, 0x3d64c772, v27
	v_fma_f32 v27, 0xbf3bfb3b, v33, -v27
	s_delay_alu instid0(VALU_DEP_3) | instskip(SKIP_4) | instid1(VALU_DEP_4)
	v_fma_f32 v31, 0x3f3bfb3b, v33, -v31
	v_fmamk_f32 v33, v38, 0xbeae86e6, v35
	v_fma_f32 v35, 0xbf5ff5aa, v22, -v35
	v_fmamk_f32 v29, v29, 0xbf955555, v19
	v_dual_add_f32 v34, v25, v18 :: v_dual_sub_f32 v39, v18, v20
	v_fmac_f32_e32 v33, 0xbee1c552, v21
	s_delay_alu instid0(VALU_DEP_4) | instskip(SKIP_2) | instid1(VALU_DEP_2)
	v_fmac_f32_e32 v35, 0xbee1c552, v21
	v_fma_f32 v37, 0x3eae86e6, v38, -v37
	v_dual_sub_f32 v36, v25, v18 :: v_dual_sub_f32 v25, v20, v25
	v_dual_add_f32 v20, v34, v20 :: v_dual_fmac_f32 v37, 0xbee1c552, v21
	s_delay_alu instid0(VALU_DEP_2) | instskip(SKIP_1) | instid1(VALU_DEP_2)
	v_mul_f32_e32 v34, 0x3f08b237, v36
	v_mul_f32_e32 v36, 0xbf5ff5aa, v39
	v_fmamk_f32 v32, v25, 0xbeae86e6, v34
	v_fma_f32 v34, 0xbf5ff5aa, v39, -v34
	v_add_f32_e32 v39, v28, v29
	s_delay_alu instid0(VALU_DEP_4) | instskip(NEXT) | instid1(VALU_DEP_4)
	v_fma_f32 v36, 0x3eae86e6, v25, -v36
	v_fmac_f32_e32 v32, 0xbee1c552, v20
	s_delay_alu instid0(VALU_DEP_2) | instskip(NEXT) | instid1(VALU_DEP_2)
	v_fmac_f32_e32 v36, 0xbee1c552, v20
	v_sub_f32_e32 v21, v39, v32
	v_add_f32_e32 v18, v56, v24
	s_delay_alu instid0(VALU_DEP_1) | instskip(NEXT) | instid1(VALU_DEP_1)
	v_fmamk_f32 v24, v24, 0xbf955555, v18
	v_add_f32_e32 v28, v30, v24
	v_add_f32_e32 v30, v31, v29
	;; [unrolled: 1-line block ×4, first 2 shown]
	s_delay_alu instid0(VALU_DEP_4) | instskip(SKIP_1) | instid1(VALU_DEP_4)
	v_dual_add_f32 v31, v26, v24 :: v_dual_sub_f32 v24, v28, v35
	v_add_f32_e32 v26, v35, v28
	v_sub_f32_e32 v23, v29, v36
	v_dual_add_f32 v29, v36, v29 :: v_dual_fmac_f32 v34, 0xbee1c552, v20
	v_add_f32_e32 v20, v33, v38
	v_add_f32_e32 v22, v37, v31
	v_dual_sub_f32 v28, v31, v37 :: v_dual_add_f32 v31, v32, v39
	s_delay_alu instid0(VALU_DEP_4)
	v_add_f32_e32 v25, v34, v30
	v_sub_f32_e32 v27, v30, v34
	v_sub_f32_e32 v30, v38, v33
	ds_store_2addr_b64 v117, v[4:5], v[18:19] offset1:119
	ds_store_2addr_b64 v52, v[6:7], v[20:21] offset0:110 offset1:229
	ds_store_2addr_b64 v53, v[8:9], v[22:23] offset0:92 offset1:211
	;; [unrolled: 1-line block ×6, first 2 shown]
	s_waitcnt lgkmcnt(0)
	s_barrier
	buffer_gl0_inv
	s_and_b32 exec_lo, exec_lo, vcc_lo
	s_cbranch_execz .LBB0_15
; %bb.14:
	global_load_b64 v[0:1], v115, s[12:13]
	ds_load_b64 v[2:3], v117
	v_mad_u64_u32 v[6:7], null, s4, v116, 0
	s_mov_b32 s0, 0xca869b81
	s_mov_b32 s1, 0x3f43ab2d
	s_mul_i32 s2, s5, 0x310
	s_mul_i32 s3, s4, 0x310
	s_waitcnt vmcnt(0) lgkmcnt(0)
	v_mul_f32_e32 v4, v3, v1
	v_mul_f32_e32 v1, v2, v1
	s_delay_alu instid0(VALU_DEP_2) | instskip(NEXT) | instid1(VALU_DEP_2)
	v_fmac_f32_e32 v4, v2, v0
	v_fma_f32 v2, v0, v3, -v1
	s_delay_alu instid0(VALU_DEP_2) | instskip(NEXT) | instid1(VALU_DEP_2)
	v_cvt_f64_f32_e32 v[0:1], v4
	v_cvt_f64_f32_e32 v[2:3], v2
	v_mad_u64_u32 v[4:5], null, s6, v80, 0
	s_delay_alu instid0(VALU_DEP_3) | instskip(NEXT) | instid1(VALU_DEP_3)
	v_mul_f64 v[0:1], v[0:1], s[0:1]
	v_mul_f64 v[2:3], v[2:3], s[0:1]
	s_delay_alu instid0(VALU_DEP_2) | instskip(NEXT) | instid1(VALU_DEP_2)
	v_cvt_f32_f64_e32 v0, v[0:1]
	v_cvt_f32_f64_e32 v1, v[2:3]
	v_dual_mov_b32 v3, v7 :: v_dual_mov_b32 v2, v5
	s_delay_alu instid0(VALU_DEP_1) | instskip(SKIP_4) | instid1(VALU_DEP_3)
	v_mad_u64_u32 v[7:8], null, s7, v80, v[2:3]
	v_mad_u64_u32 v[8:9], null, s5, v116, v[3:4]
	s_mul_hi_u32 s5, s4, 0x310
	v_add_co_u32 v10, s4, s12, v115
	s_add_i32 s2, s5, s2
	v_mov_b32_e32 v5, v7
	v_add_co_ci_u32_e64 v11, null, s13, 0, s4
	s_delay_alu instid0(VALU_DEP_4) | instskip(NEXT) | instid1(VALU_DEP_3)
	v_mov_b32_e32 v7, v8
	v_lshlrev_b64 v[2:3], 3, v[4:5]
	s_delay_alu instid0(VALU_DEP_2) | instskip(NEXT) | instid1(VALU_DEP_2)
	v_lshlrev_b64 v[4:5], 3, v[6:7]
	v_add_co_u32 v2, vcc_lo, s14, v2
	s_delay_alu instid0(VALU_DEP_3) | instskip(NEXT) | instid1(VALU_DEP_2)
	v_add_co_ci_u32_e32 v3, vcc_lo, s15, v3, vcc_lo
	v_add_co_u32 v4, vcc_lo, v2, v4
	s_delay_alu instid0(VALU_DEP_2)
	v_add_co_ci_u32_e32 v5, vcc_lo, v3, v5, vcc_lo
	global_store_b64 v[4:5], v[0:1], off
	global_load_b64 v[6:7], v115, s[12:13] offset:784
	ds_load_2addr_b64 v[0:3], v118 offset0:98 offset1:196
	v_add_co_u32 v4, vcc_lo, v4, s3
	v_add_co_ci_u32_e32 v5, vcc_lo, s2, v5, vcc_lo
	s_waitcnt vmcnt(0) lgkmcnt(0)
	v_mul_f32_e32 v8, v1, v7
	v_mul_f32_e32 v7, v0, v7
	s_delay_alu instid0(VALU_DEP_2) | instskip(NEXT) | instid1(VALU_DEP_2)
	v_fmac_f32_e32 v8, v0, v6
	v_fma_f32 v6, v6, v1, -v7
	s_delay_alu instid0(VALU_DEP_2) | instskip(NEXT) | instid1(VALU_DEP_2)
	v_cvt_f64_f32_e32 v[0:1], v8
	v_cvt_f64_f32_e32 v[6:7], v6
	s_delay_alu instid0(VALU_DEP_2) | instskip(NEXT) | instid1(VALU_DEP_2)
	v_mul_f64 v[0:1], v[0:1], s[0:1]
	v_mul_f64 v[6:7], v[6:7], s[0:1]
	s_delay_alu instid0(VALU_DEP_2) | instskip(NEXT) | instid1(VALU_DEP_2)
	v_cvt_f32_f64_e32 v0, v[0:1]
	v_cvt_f32_f64_e32 v1, v[6:7]
	global_store_b64 v[4:5], v[0:1], off
	global_load_b64 v[0:1], v115, s[12:13] offset:1568
	v_add_co_u32 v4, vcc_lo, v4, s3
	v_add_co_ci_u32_e32 v5, vcc_lo, s2, v5, vcc_lo
	s_waitcnt vmcnt(0)
	v_mul_f32_e32 v6, v3, v1
	v_mul_f32_e32 v1, v2, v1
	s_delay_alu instid0(VALU_DEP_2) | instskip(NEXT) | instid1(VALU_DEP_2)
	v_fmac_f32_e32 v6, v2, v0
	v_fma_f32 v2, v0, v3, -v1
	s_delay_alu instid0(VALU_DEP_2) | instskip(NEXT) | instid1(VALU_DEP_2)
	v_cvt_f64_f32_e32 v[0:1], v6
	v_cvt_f64_f32_e32 v[2:3], v2
	s_delay_alu instid0(VALU_DEP_2) | instskip(NEXT) | instid1(VALU_DEP_2)
	v_mul_f64 v[0:1], v[0:1], s[0:1]
	v_mul_f64 v[2:3], v[2:3], s[0:1]
	s_delay_alu instid0(VALU_DEP_2) | instskip(NEXT) | instid1(VALU_DEP_2)
	v_cvt_f32_f64_e32 v0, v[0:1]
	v_cvt_f32_f64_e32 v1, v[2:3]
	global_store_b64 v[4:5], v[0:1], off
	global_load_b64 v[6:7], v115, s[12:13] offset:2352
	v_add_nc_u32_e32 v0, 0x800, v118
	v_add_co_u32 v4, vcc_lo, v4, s3
	v_add_co_ci_u32_e32 v5, vcc_lo, s2, v5, vcc_lo
	ds_load_2addr_b64 v[0:3], v0 offset0:38 offset1:136
	s_waitcnt vmcnt(0) lgkmcnt(0)
	v_mul_f32_e32 v8, v1, v7
	v_mul_f32_e32 v7, v0, v7
	s_delay_alu instid0(VALU_DEP_2) | instskip(NEXT) | instid1(VALU_DEP_2)
	v_fmac_f32_e32 v8, v0, v6
	v_fma_f32 v6, v6, v1, -v7
	s_delay_alu instid0(VALU_DEP_2) | instskip(NEXT) | instid1(VALU_DEP_2)
	v_cvt_f64_f32_e32 v[0:1], v8
	v_cvt_f64_f32_e32 v[6:7], v6
	s_delay_alu instid0(VALU_DEP_2) | instskip(NEXT) | instid1(VALU_DEP_2)
	v_mul_f64 v[0:1], v[0:1], s[0:1]
	v_mul_f64 v[6:7], v[6:7], s[0:1]
	s_delay_alu instid0(VALU_DEP_2) | instskip(NEXT) | instid1(VALU_DEP_2)
	v_cvt_f32_f64_e32 v0, v[0:1]
	v_cvt_f32_f64_e32 v1, v[6:7]
	global_store_b64 v[4:5], v[0:1], off
	global_load_b64 v[0:1], v115, s[12:13] offset:3136
	v_add_co_u32 v4, vcc_lo, v4, s3
	v_add_co_ci_u32_e32 v5, vcc_lo, s2, v5, vcc_lo
	s_waitcnt vmcnt(0)
	v_mul_f32_e32 v6, v3, v1
	v_mul_f32_e32 v1, v2, v1
	s_delay_alu instid0(VALU_DEP_2) | instskip(NEXT) | instid1(VALU_DEP_2)
	v_fmac_f32_e32 v6, v2, v0
	v_fma_f32 v2, v0, v3, -v1
	s_delay_alu instid0(VALU_DEP_2) | instskip(NEXT) | instid1(VALU_DEP_2)
	v_cvt_f64_f32_e32 v[0:1], v6
	v_cvt_f64_f32_e32 v[2:3], v2
	s_delay_alu instid0(VALU_DEP_2) | instskip(NEXT) | instid1(VALU_DEP_2)
	v_mul_f64 v[0:1], v[0:1], s[0:1]
	v_mul_f64 v[2:3], v[2:3], s[0:1]
	s_delay_alu instid0(VALU_DEP_2) | instskip(NEXT) | instid1(VALU_DEP_2)
	v_cvt_f32_f64_e32 v0, v[0:1]
	v_cvt_f32_f64_e32 v1, v[2:3]
	global_store_b64 v[4:5], v[0:1], off
	global_load_b64 v[6:7], v115, s[12:13] offset:3920
	v_add_nc_u32_e32 v0, 0xc00, v118
	v_add_co_u32 v4, vcc_lo, v4, s3
	v_add_co_ci_u32_e32 v5, vcc_lo, s2, v5, vcc_lo
	ds_load_2addr_b64 v[0:3], v0 offset0:106 offset1:204
	s_waitcnt vmcnt(0) lgkmcnt(0)
	v_mul_f32_e32 v8, v1, v7
	v_mul_f32_e32 v7, v0, v7
	s_delay_alu instid0(VALU_DEP_2) | instskip(NEXT) | instid1(VALU_DEP_2)
	v_fmac_f32_e32 v8, v0, v6
	v_fma_f32 v6, v6, v1, -v7
	s_delay_alu instid0(VALU_DEP_2) | instskip(NEXT) | instid1(VALU_DEP_2)
	v_cvt_f64_f32_e32 v[0:1], v8
	v_cvt_f64_f32_e32 v[6:7], v6
	s_delay_alu instid0(VALU_DEP_2) | instskip(NEXT) | instid1(VALU_DEP_2)
	v_mul_f64 v[0:1], v[0:1], s[0:1]
	v_mul_f64 v[6:7], v[6:7], s[0:1]
	s_delay_alu instid0(VALU_DEP_2) | instskip(NEXT) | instid1(VALU_DEP_2)
	v_cvt_f32_f64_e32 v0, v[0:1]
	v_cvt_f32_f64_e32 v1, v[6:7]
	v_add_co_u32 v6, vcc_lo, 0x1000, v10
	v_add_co_ci_u32_e32 v7, vcc_lo, 0, v11, vcc_lo
	global_store_b64 v[4:5], v[0:1], off
	global_load_b64 v[0:1], v[6:7], off offset:608
	v_add_co_u32 v4, vcc_lo, v4, s3
	v_add_co_ci_u32_e32 v5, vcc_lo, s2, v5, vcc_lo
	s_waitcnt vmcnt(0)
	v_mul_f32_e32 v8, v3, v1
	v_mul_f32_e32 v1, v2, v1
	s_delay_alu instid0(VALU_DEP_2) | instskip(NEXT) | instid1(VALU_DEP_2)
	v_fmac_f32_e32 v8, v2, v0
	v_fma_f32 v2, v0, v3, -v1
	s_delay_alu instid0(VALU_DEP_2) | instskip(NEXT) | instid1(VALU_DEP_2)
	v_cvt_f64_f32_e32 v[0:1], v8
	v_cvt_f64_f32_e32 v[2:3], v2
	s_delay_alu instid0(VALU_DEP_2) | instskip(NEXT) | instid1(VALU_DEP_2)
	v_mul_f64 v[0:1], v[0:1], s[0:1]
	v_mul_f64 v[2:3], v[2:3], s[0:1]
	s_delay_alu instid0(VALU_DEP_2) | instskip(NEXT) | instid1(VALU_DEP_2)
	v_cvt_f32_f64_e32 v0, v[0:1]
	v_cvt_f32_f64_e32 v1, v[2:3]
	global_store_b64 v[4:5], v[0:1], off
	global_load_b64 v[8:9], v[6:7], off offset:1392
	v_add_nc_u32_e32 v0, 0x1400, v118
	v_add_co_u32 v4, vcc_lo, v4, s3
	v_add_co_ci_u32_e32 v5, vcc_lo, s2, v5, vcc_lo
	ds_load_2addr_b64 v[0:3], v0 offset0:46 offset1:144
	s_waitcnt vmcnt(0) lgkmcnt(0)
	v_mul_f32_e32 v12, v1, v9
	v_mul_f32_e32 v9, v0, v9
	s_delay_alu instid0(VALU_DEP_2) | instskip(NEXT) | instid1(VALU_DEP_2)
	v_fmac_f32_e32 v12, v0, v8
	v_fma_f32 v8, v8, v1, -v9
	s_delay_alu instid0(VALU_DEP_2) | instskip(NEXT) | instid1(VALU_DEP_2)
	v_cvt_f64_f32_e32 v[0:1], v12
	v_cvt_f64_f32_e32 v[8:9], v8
	s_delay_alu instid0(VALU_DEP_2) | instskip(NEXT) | instid1(VALU_DEP_2)
	v_mul_f64 v[0:1], v[0:1], s[0:1]
	v_mul_f64 v[8:9], v[8:9], s[0:1]
	s_delay_alu instid0(VALU_DEP_2) | instskip(NEXT) | instid1(VALU_DEP_2)
	v_cvt_f32_f64_e32 v0, v[0:1]
	v_cvt_f32_f64_e32 v1, v[8:9]
	global_store_b64 v[4:5], v[0:1], off
	global_load_b64 v[0:1], v[6:7], off offset:2176
	v_add_co_u32 v4, vcc_lo, v4, s3
	v_add_co_ci_u32_e32 v5, vcc_lo, s2, v5, vcc_lo
	s_waitcnt vmcnt(0)
	v_mul_f32_e32 v8, v3, v1
	v_mul_f32_e32 v1, v2, v1
	s_delay_alu instid0(VALU_DEP_2) | instskip(NEXT) | instid1(VALU_DEP_2)
	v_fmac_f32_e32 v8, v2, v0
	v_fma_f32 v2, v0, v3, -v1
	s_delay_alu instid0(VALU_DEP_2) | instskip(NEXT) | instid1(VALU_DEP_2)
	v_cvt_f64_f32_e32 v[0:1], v8
	v_cvt_f64_f32_e32 v[2:3], v2
	s_delay_alu instid0(VALU_DEP_2) | instskip(NEXT) | instid1(VALU_DEP_2)
	v_mul_f64 v[0:1], v[0:1], s[0:1]
	v_mul_f64 v[2:3], v[2:3], s[0:1]
	s_delay_alu instid0(VALU_DEP_2) | instskip(NEXT) | instid1(VALU_DEP_2)
	v_cvt_f32_f64_e32 v0, v[0:1]
	v_cvt_f32_f64_e32 v1, v[2:3]
	global_store_b64 v[4:5], v[0:1], off
	global_load_b64 v[8:9], v[6:7], off offset:2960
	v_add_nc_u32_e32 v0, 0x1800, v118
	v_add_co_u32 v4, vcc_lo, v4, s3
	v_add_co_ci_u32_e32 v5, vcc_lo, s2, v5, vcc_lo
	ds_load_2addr_b64 v[0:3], v0 offset0:114 offset1:212
	s_waitcnt vmcnt(0) lgkmcnt(0)
	v_mul_f32_e32 v12, v1, v9
	v_mul_f32_e32 v9, v0, v9
	s_delay_alu instid0(VALU_DEP_2) | instskip(NEXT) | instid1(VALU_DEP_2)
	v_fmac_f32_e32 v12, v0, v8
	v_fma_f32 v8, v8, v1, -v9
	s_delay_alu instid0(VALU_DEP_2) | instskip(NEXT) | instid1(VALU_DEP_2)
	v_cvt_f64_f32_e32 v[0:1], v12
	v_cvt_f64_f32_e32 v[8:9], v8
	s_delay_alu instid0(VALU_DEP_2) | instskip(NEXT) | instid1(VALU_DEP_2)
	v_mul_f64 v[0:1], v[0:1], s[0:1]
	v_mul_f64 v[8:9], v[8:9], s[0:1]
	s_delay_alu instid0(VALU_DEP_2) | instskip(NEXT) | instid1(VALU_DEP_2)
	v_cvt_f32_f64_e32 v0, v[0:1]
	v_cvt_f32_f64_e32 v1, v[8:9]
	global_store_b64 v[4:5], v[0:1], off
	global_load_b64 v[0:1], v[6:7], off offset:3744
	v_add_co_u32 v4, vcc_lo, v4, s3
	v_add_co_ci_u32_e32 v5, vcc_lo, s2, v5, vcc_lo
	s_waitcnt vmcnt(0)
	v_mul_f32_e32 v6, v3, v1
	v_mul_f32_e32 v1, v2, v1
	s_delay_alu instid0(VALU_DEP_2) | instskip(NEXT) | instid1(VALU_DEP_2)
	v_fmac_f32_e32 v6, v2, v0
	v_fma_f32 v2, v0, v3, -v1
	s_delay_alu instid0(VALU_DEP_2) | instskip(NEXT) | instid1(VALU_DEP_2)
	v_cvt_f64_f32_e32 v[0:1], v6
	v_cvt_f64_f32_e32 v[2:3], v2
	v_add_co_u32 v6, vcc_lo, 0x2000, v10
	v_add_co_ci_u32_e32 v7, vcc_lo, 0, v11, vcc_lo
	s_delay_alu instid0(VALU_DEP_4) | instskip(NEXT) | instid1(VALU_DEP_4)
	v_mul_f64 v[0:1], v[0:1], s[0:1]
	v_mul_f64 v[2:3], v[2:3], s[0:1]
	s_delay_alu instid0(VALU_DEP_2) | instskip(NEXT) | instid1(VALU_DEP_2)
	v_cvt_f32_f64_e32 v0, v[0:1]
	v_cvt_f32_f64_e32 v1, v[2:3]
	global_store_b64 v[4:5], v[0:1], off
	global_load_b64 v[8:9], v[6:7], off offset:432
	v_add_nc_u32_e32 v0, 0x2000, v118
	v_add_co_u32 v4, vcc_lo, v4, s3
	v_add_co_ci_u32_e32 v5, vcc_lo, s2, v5, vcc_lo
	ds_load_2addr_b64 v[0:3], v0 offset0:54 offset1:152
	s_waitcnt vmcnt(0) lgkmcnt(0)
	v_mul_f32_e32 v12, v1, v9
	v_mul_f32_e32 v9, v0, v9
	s_delay_alu instid0(VALU_DEP_2) | instskip(NEXT) | instid1(VALU_DEP_2)
	v_fmac_f32_e32 v12, v0, v8
	v_fma_f32 v8, v8, v1, -v9
	s_delay_alu instid0(VALU_DEP_2) | instskip(NEXT) | instid1(VALU_DEP_2)
	v_cvt_f64_f32_e32 v[0:1], v12
	v_cvt_f64_f32_e32 v[8:9], v8
	s_delay_alu instid0(VALU_DEP_2) | instskip(NEXT) | instid1(VALU_DEP_2)
	v_mul_f64 v[0:1], v[0:1], s[0:1]
	v_mul_f64 v[8:9], v[8:9], s[0:1]
	s_delay_alu instid0(VALU_DEP_2) | instskip(NEXT) | instid1(VALU_DEP_2)
	v_cvt_f32_f64_e32 v0, v[0:1]
	v_cvt_f32_f64_e32 v1, v[8:9]
	global_store_b64 v[4:5], v[0:1], off
	global_load_b64 v[0:1], v[6:7], off offset:1216
	v_add_co_u32 v4, vcc_lo, v4, s3
	v_add_co_ci_u32_e32 v5, vcc_lo, s2, v5, vcc_lo
	s_waitcnt vmcnt(0)
	v_mul_f32_e32 v8, v3, v1
	v_mul_f32_e32 v1, v2, v1
	s_delay_alu instid0(VALU_DEP_2) | instskip(NEXT) | instid1(VALU_DEP_2)
	v_fmac_f32_e32 v8, v2, v0
	v_fma_f32 v2, v0, v3, -v1
	s_delay_alu instid0(VALU_DEP_2) | instskip(NEXT) | instid1(VALU_DEP_2)
	v_cvt_f64_f32_e32 v[0:1], v8
	v_cvt_f64_f32_e32 v[2:3], v2
	s_delay_alu instid0(VALU_DEP_2) | instskip(NEXT) | instid1(VALU_DEP_2)
	v_mul_f64 v[0:1], v[0:1], s[0:1]
	v_mul_f64 v[2:3], v[2:3], s[0:1]
	s_delay_alu instid0(VALU_DEP_2) | instskip(NEXT) | instid1(VALU_DEP_2)
	v_cvt_f32_f64_e32 v0, v[0:1]
	v_cvt_f32_f64_e32 v1, v[2:3]
	global_store_b64 v[4:5], v[0:1], off
	global_load_b64 v[8:9], v[6:7], off offset:2000
	v_add_nc_u32_e32 v0, 0x2400, v118
	v_add_co_u32 v4, vcc_lo, v4, s3
	v_add_co_ci_u32_e32 v5, vcc_lo, s2, v5, vcc_lo
	ds_load_2addr_b64 v[0:3], v0 offset0:122 offset1:220
	s_waitcnt vmcnt(0) lgkmcnt(0)
	v_mul_f32_e32 v12, v1, v9
	v_mul_f32_e32 v9, v0, v9
	s_delay_alu instid0(VALU_DEP_2) | instskip(NEXT) | instid1(VALU_DEP_2)
	v_fmac_f32_e32 v12, v0, v8
	v_fma_f32 v8, v8, v1, -v9
	s_delay_alu instid0(VALU_DEP_2) | instskip(NEXT) | instid1(VALU_DEP_2)
	v_cvt_f64_f32_e32 v[0:1], v12
	v_cvt_f64_f32_e32 v[8:9], v8
	s_delay_alu instid0(VALU_DEP_2) | instskip(NEXT) | instid1(VALU_DEP_2)
	v_mul_f64 v[0:1], v[0:1], s[0:1]
	v_mul_f64 v[8:9], v[8:9], s[0:1]
	s_delay_alu instid0(VALU_DEP_2) | instskip(NEXT) | instid1(VALU_DEP_2)
	v_cvt_f32_f64_e32 v0, v[0:1]
	v_cvt_f32_f64_e32 v1, v[8:9]
	global_store_b64 v[4:5], v[0:1], off
	global_load_b64 v[0:1], v[6:7], off offset:2784
	v_add_co_u32 v4, vcc_lo, v4, s3
	v_add_co_ci_u32_e32 v5, vcc_lo, s2, v5, vcc_lo
	s_waitcnt vmcnt(0)
	v_mul_f32_e32 v8, v3, v1
	v_mul_f32_e32 v1, v2, v1
	s_delay_alu instid0(VALU_DEP_2) | instskip(NEXT) | instid1(VALU_DEP_2)
	v_fmac_f32_e32 v8, v2, v0
	v_fma_f32 v2, v0, v3, -v1
	s_delay_alu instid0(VALU_DEP_2) | instskip(NEXT) | instid1(VALU_DEP_2)
	v_cvt_f64_f32_e32 v[0:1], v8
	v_cvt_f64_f32_e32 v[2:3], v2
	s_delay_alu instid0(VALU_DEP_2) | instskip(NEXT) | instid1(VALU_DEP_2)
	v_mul_f64 v[0:1], v[0:1], s[0:1]
	v_mul_f64 v[2:3], v[2:3], s[0:1]
	s_delay_alu instid0(VALU_DEP_2) | instskip(NEXT) | instid1(VALU_DEP_2)
	v_cvt_f32_f64_e32 v0, v[0:1]
	v_cvt_f32_f64_e32 v1, v[2:3]
	global_store_b64 v[4:5], v[0:1], off
	global_load_b64 v[6:7], v[6:7], off offset:3568
	v_add_nc_u32_e32 v0, 0x2c00, v118
	v_add_co_u32 v4, vcc_lo, v4, s3
	v_add_co_ci_u32_e32 v5, vcc_lo, s2, v5, vcc_lo
	ds_load_2addr_b64 v[0:3], v0 offset0:62 offset1:160
	s_waitcnt vmcnt(0) lgkmcnt(0)
	v_mul_f32_e32 v8, v1, v7
	v_mul_f32_e32 v7, v0, v7
	s_delay_alu instid0(VALU_DEP_2) | instskip(NEXT) | instid1(VALU_DEP_2)
	v_fmac_f32_e32 v8, v0, v6
	v_fma_f32 v6, v6, v1, -v7
	s_delay_alu instid0(VALU_DEP_2) | instskip(NEXT) | instid1(VALU_DEP_2)
	v_cvt_f64_f32_e32 v[0:1], v8
	v_cvt_f64_f32_e32 v[6:7], v6
	s_delay_alu instid0(VALU_DEP_2) | instskip(NEXT) | instid1(VALU_DEP_2)
	v_mul_f64 v[0:1], v[0:1], s[0:1]
	v_mul_f64 v[6:7], v[6:7], s[0:1]
	s_delay_alu instid0(VALU_DEP_2) | instskip(NEXT) | instid1(VALU_DEP_2)
	v_cvt_f32_f64_e32 v0, v[0:1]
	v_cvt_f32_f64_e32 v1, v[6:7]
	v_add_co_u32 v6, vcc_lo, 0x3000, v10
	v_add_co_ci_u32_e32 v7, vcc_lo, 0, v11, vcc_lo
	global_store_b64 v[4:5], v[0:1], off
	global_load_b64 v[0:1], v[6:7], off offset:256
	s_waitcnt vmcnt(0)
	v_mul_f32_e32 v6, v3, v1
	v_mul_f32_e32 v1, v2, v1
	s_delay_alu instid0(VALU_DEP_2) | instskip(NEXT) | instid1(VALU_DEP_2)
	v_fmac_f32_e32 v6, v2, v0
	v_fma_f32 v2, v0, v3, -v1
	s_delay_alu instid0(VALU_DEP_2) | instskip(NEXT) | instid1(VALU_DEP_2)
	v_cvt_f64_f32_e32 v[0:1], v6
	v_cvt_f64_f32_e32 v[2:3], v2
	s_delay_alu instid0(VALU_DEP_2) | instskip(NEXT) | instid1(VALU_DEP_2)
	v_mul_f64 v[0:1], v[0:1], s[0:1]
	v_mul_f64 v[2:3], v[2:3], s[0:1]
	s_delay_alu instid0(VALU_DEP_2) | instskip(NEXT) | instid1(VALU_DEP_2)
	v_cvt_f32_f64_e32 v0, v[0:1]
	v_cvt_f32_f64_e32 v1, v[2:3]
	v_add_co_u32 v2, vcc_lo, v4, s3
	v_add_co_ci_u32_e32 v3, vcc_lo, s2, v5, vcc_lo
	global_store_b64 v[2:3], v[0:1], off
.LBB0_15:
	s_nop 0
	s_sendmsg sendmsg(MSG_DEALLOC_VGPRS)
	s_endpgm
	.section	.rodata,"a",@progbits
	.p2align	6, 0x0
	.amdhsa_kernel bluestein_single_fwd_len1666_dim1_sp_op_CI_CI
		.amdhsa_group_segment_fixed_size 13328
		.amdhsa_private_segment_fixed_size 0
		.amdhsa_kernarg_size 104
		.amdhsa_user_sgpr_count 15
		.amdhsa_user_sgpr_dispatch_ptr 0
		.amdhsa_user_sgpr_queue_ptr 0
		.amdhsa_user_sgpr_kernarg_segment_ptr 1
		.amdhsa_user_sgpr_dispatch_id 0
		.amdhsa_user_sgpr_private_segment_size 0
		.amdhsa_wavefront_size32 1
		.amdhsa_uses_dynamic_stack 0
		.amdhsa_enable_private_segment 0
		.amdhsa_system_sgpr_workgroup_id_x 1
		.amdhsa_system_sgpr_workgroup_id_y 0
		.amdhsa_system_sgpr_workgroup_id_z 0
		.amdhsa_system_sgpr_workgroup_info 0
		.amdhsa_system_vgpr_workitem_id 0
		.amdhsa_next_free_vgpr 215
		.amdhsa_next_free_sgpr 16
		.amdhsa_reserve_vcc 1
		.amdhsa_float_round_mode_32 0
		.amdhsa_float_round_mode_16_64 0
		.amdhsa_float_denorm_mode_32 3
		.amdhsa_float_denorm_mode_16_64 3
		.amdhsa_dx10_clamp 1
		.amdhsa_ieee_mode 1
		.amdhsa_fp16_overflow 0
		.amdhsa_workgroup_processor_mode 1
		.amdhsa_memory_ordered 1
		.amdhsa_forward_progress 0
		.amdhsa_shared_vgpr_count 0
		.amdhsa_exception_fp_ieee_invalid_op 0
		.amdhsa_exception_fp_denorm_src 0
		.amdhsa_exception_fp_ieee_div_zero 0
		.amdhsa_exception_fp_ieee_overflow 0
		.amdhsa_exception_fp_ieee_underflow 0
		.amdhsa_exception_fp_ieee_inexact 0
		.amdhsa_exception_int_div_zero 0
	.end_amdhsa_kernel
	.text
.Lfunc_end0:
	.size	bluestein_single_fwd_len1666_dim1_sp_op_CI_CI, .Lfunc_end0-bluestein_single_fwd_len1666_dim1_sp_op_CI_CI
                                        ; -- End function
	.section	.AMDGPU.csdata,"",@progbits
; Kernel info:
; codeLenInByte = 22948
; NumSgprs: 18
; NumVgprs: 215
; ScratchSize: 0
; MemoryBound: 0
; FloatMode: 240
; IeeeMode: 1
; LDSByteSize: 13328 bytes/workgroup (compile time only)
; SGPRBlocks: 2
; VGPRBlocks: 26
; NumSGPRsForWavesPerEU: 18
; NumVGPRsForWavesPerEU: 215
; Occupancy: 7
; WaveLimiterHint : 1
; COMPUTE_PGM_RSRC2:SCRATCH_EN: 0
; COMPUTE_PGM_RSRC2:USER_SGPR: 15
; COMPUTE_PGM_RSRC2:TRAP_HANDLER: 0
; COMPUTE_PGM_RSRC2:TGID_X_EN: 1
; COMPUTE_PGM_RSRC2:TGID_Y_EN: 0
; COMPUTE_PGM_RSRC2:TGID_Z_EN: 0
; COMPUTE_PGM_RSRC2:TIDIG_COMP_CNT: 0
	.text
	.p2alignl 7, 3214868480
	.fill 96, 4, 3214868480
	.type	__hip_cuid_1646bb6e9e7d6360,@object ; @__hip_cuid_1646bb6e9e7d6360
	.section	.bss,"aw",@nobits
	.globl	__hip_cuid_1646bb6e9e7d6360
__hip_cuid_1646bb6e9e7d6360:
	.byte	0                               ; 0x0
	.size	__hip_cuid_1646bb6e9e7d6360, 1

	.ident	"AMD clang version 19.0.0git (https://github.com/RadeonOpenCompute/llvm-project roc-6.4.0 25133 c7fe45cf4b819c5991fe208aaa96edf142730f1d)"
	.section	".note.GNU-stack","",@progbits
	.addrsig
	.addrsig_sym __hip_cuid_1646bb6e9e7d6360
	.amdgpu_metadata
---
amdhsa.kernels:
  - .args:
      - .actual_access:  read_only
        .address_space:  global
        .offset:         0
        .size:           8
        .value_kind:     global_buffer
      - .actual_access:  read_only
        .address_space:  global
        .offset:         8
        .size:           8
        .value_kind:     global_buffer
      - .actual_access:  read_only
        .address_space:  global
        .offset:         16
        .size:           8
        .value_kind:     global_buffer
      - .actual_access:  read_only
        .address_space:  global
        .offset:         24
        .size:           8
        .value_kind:     global_buffer
      - .actual_access:  read_only
        .address_space:  global
        .offset:         32
        .size:           8
        .value_kind:     global_buffer
      - .offset:         40
        .size:           8
        .value_kind:     by_value
      - .address_space:  global
        .offset:         48
        .size:           8
        .value_kind:     global_buffer
      - .address_space:  global
        .offset:         56
        .size:           8
        .value_kind:     global_buffer
      - .address_space:  global
        .offset:         64
        .size:           8
        .value_kind:     global_buffer
      - .address_space:  global
        .offset:         72
        .size:           8
        .value_kind:     global_buffer
      - .offset:         80
        .size:           4
        .value_kind:     by_value
      - .address_space:  global
        .offset:         88
        .size:           8
        .value_kind:     global_buffer
      - .address_space:  global
        .offset:         96
        .size:           8
        .value_kind:     global_buffer
    .group_segment_fixed_size: 13328
    .kernarg_segment_align: 8
    .kernarg_segment_size: 104
    .language:       OpenCL C
    .language_version:
      - 2
      - 0
    .max_flat_workgroup_size: 119
    .name:           bluestein_single_fwd_len1666_dim1_sp_op_CI_CI
    .private_segment_fixed_size: 0
    .sgpr_count:     18
    .sgpr_spill_count: 0
    .symbol:         bluestein_single_fwd_len1666_dim1_sp_op_CI_CI.kd
    .uniform_work_group_size: 1
    .uses_dynamic_stack: false
    .vgpr_count:     215
    .vgpr_spill_count: 0
    .wavefront_size: 32
    .workgroup_processor_mode: 1
amdhsa.target:   amdgcn-amd-amdhsa--gfx1100
amdhsa.version:
  - 1
  - 2
...

	.end_amdgpu_metadata
